;; amdgpu-corpus repo=ROCm/rccl kind=compiled arch=gfx950 opt=O3
	.amdgcn_target "amdgcn-amd-amdhsa--gfx950"
	.amdhsa_code_object_version 6
	.text
	.p2align	2                               ; -- Begin function _ZN12_GLOBAL__N_17runRingIh14FuncSumPostDivIhE7ProtoLLLi0ELi1ELi0EEEviiP15ncclDevWorkColl
	.type	_ZN12_GLOBAL__N_17runRingIh14FuncSumPostDivIhE7ProtoLLLi0ELi1ELi0EEEviiP15ncclDevWorkColl,@function
_ZN12_GLOBAL__N_17runRingIh14FuncSumPostDivIhE7ProtoLLLi0ELi1ELi0EEEviiP15ncclDevWorkColl: ; @_ZN12_GLOBAL__N_17runRingIh14FuncSumPostDivIhE7ProtoLLLi0ELi1ELi0EEEviiP15ncclDevWorkColl
; %bb.0:
	s_waitcnt vmcnt(0) expcnt(0) lgkmcnt(0)
	s_or_saveexec_b64 s[0:1], -1
	scratch_store_dword off, v74, s32 offset:72 ; 4-byte Folded Spill
	s_mov_b64 exec, s[0:1]
	scratch_store_dword off, v40, s32 offset:68 ; 4-byte Folded Spill
	scratch_store_dword off, v41, s32 offset:64 ; 4-byte Folded Spill
	;; [unrolled: 1-line block ×17, first 2 shown]
	scratch_store_dword off, v73, s32       ; 4-byte Folded Spill
	v_writelane_b32 v74, s30, 0
	s_nop 1
	v_writelane_b32 v74, s31, 1
	s_trap 2
	flat_load_dword v9, v[2:3]
	flat_load_dwordx4 v[4:7], v[2:3] offset:72
	flat_load_dwordx2 v[18:19], v[2:3] offset:88
	s_movk_i32 s0, 0xff
	v_mov_b32_e32 v20, v1
	ds_read_b32 v1, v0
	ds_read_b64 v[22:23], v0
                                        ; implicit-def: $vgpr64_vgpr65
                                        ; implicit-def: $vgpr24_vgpr25
	s_waitcnt lgkmcnt(0)
	v_readfirstlane_b32 s18, v1
	s_waitcnt vmcnt(0)
	v_bitop3_b32 v8, v9, s0, v9 bitop3:0x3f
	v_add_u32_sdwa v10, v9, v8 dst_sel:DWORD dst_unused:UNUSED_PAD src0_sel:BYTE_1 src1_sel:DWORD
	v_ashrrev_i32_e32 v11, 31, v10
	v_mul_lo_u32 v12, v7, v10
	v_mad_u64_u32 v[68:69], s[0:1], v6, v10, 0
	v_mul_lo_u32 v10, v6, v11
	v_add3_u32 v69, v69, v10, v12
	v_cmp_ne_u32_sdwa s[0:1], v1, v9 src0_sel:DWORD src1_sel:BYTE_0
	s_and_saveexec_b64 s[2:3], s[0:1]
	s_xor_b64 s[0:1], exec, s[2:3]
	s_cbranch_execz .LBB0_6
; %bb.1:
	v_cmp_ne_u32_sdwa s[2:3], v1, v9 src0_sel:DWORD src1_sel:BYTE_1
                                        ; implicit-def: $vgpr64_vgpr65
                                        ; implicit-def: $vgpr24_vgpr25
	s_and_saveexec_b64 s[4:5], s[2:3]
	s_xor_b64 s[2:3], exec, s[4:5]
	s_cbranch_execz .LBB0_3
; %bb.2:
	flat_load_dwordx2 v[10:11], v[2:3] offset:96
	v_add_u32_e32 v1, v1, v8
	v_ashrrev_i32_e32 v8, 31, v1
	v_mul_lo_u32 v8, v6, v8
	v_mul_lo_u32 v9, v7, v1
	v_mad_u64_u32 v[24:25], s[4:5], v6, v1, v[4:5]
	v_add3_u32 v25, v9, v25, v8
	s_waitcnt vmcnt(0) lgkmcnt(0)
	v_lshrrev_b64 v[64:65], 17, v[10:11]
.LBB0_3:
	s_andn2_saveexec_b64 s[2:3], s[2:3]
	s_cbranch_execz .LBB0_5
; %bb.4:
	flat_load_dword v1, v[2:3] offset:100
	v_lshl_add_u64 v[24:25], v[68:69], 0, v[4:5]
	v_mov_b64_e32 v[6:7], v[18:19]
	s_waitcnt vmcnt(0) lgkmcnt(0)
	v_lshrrev_b32_e32 v64, 6, v1
.LBB0_5:
	s_or_b64 exec, exec, s[2:3]
.LBB0_6:
	s_andn2_saveexec_b64 s[0:1], s[0:1]
	s_cbranch_execz .LBB0_8
; %bb.7:
	flat_load_dwordx2 v[6:7], v[2:3] offset:96
	v_mov_b64_e32 v[24:25], 0
	s_waitcnt vmcnt(0) lgkmcnt(0)
	v_lshlrev_b64 v[64:65], 4, v[6:7]
	v_mov_b64_e32 v[6:7], v[4:5]
.LBB0_8:
	s_or_b64 exec, exec, s[0:1]
	s_load_dword s0, s[8:9], 0x0
	flat_load_dword v1, v[2:3] offset:104
	flat_load_ushort v13, v[2:3] offset:8
	flat_load_dword v12, v[2:3] offset:4
	flat_load_dwordx4 v[8:11], v[2:3] offset:16
	v_mov_b32_e32 v3, 0
	v_and_b32_e32 v14, 63, v0
	s_mov_b32 s2, 0
	s_waitcnt lgkmcnt(0)
	s_cmp_lt_u32 s12, s0
	s_cselect_b32 s0, 12, 18
	s_add_u32 s0, s8, s0
	s_addc_u32 s1, s9, 0
	global_load_ushort v44, v3, s[0:1]
	s_trap 2
	ds_read_b32 v2, v0
	v_mov_b64_e32 v[26:27], 0
	v_cmp_eq_u32_e64 s[0:1], 0, v14
	s_waitcnt lgkmcnt(0)
	v_cmp_gt_i32_e32 vcc, 0, v2
	v_readfirstlane_b32 s4, v2
	s_waitcnt vmcnt(0)
	v_lshrrev_b64 v[12:13], 31, v[12:13]
	v_and_b32_e32 v15, 3, v12
	s_cbranch_vccnz .LBB0_10
; %bb.9:
	s_trap 2
	ds_read_b64 v[12:13], v0
	v_lshlrev_b64 v[2:3], 3, v[2:3]
	s_movk_i32 s2, 0xa8
	s_waitcnt lgkmcnt(0)
	v_lshl_add_u64 v[2:3], v[12:13], 0, v[2:3]
	flat_load_dwordx2 v[2:3], v[2:3]
	v_and_b32_e32 v12, 0xffff, v15
	s_waitcnt vmcnt(0) lgkmcnt(0)
	v_mad_u64_u32 v[2:3], s[2:3], v12, s2, v[2:3]
	flat_load_dwordx2 v[32:33], v[2:3] offset:504
	flat_load_dwordx2 v[34:35], v[2:3] offset:608
	s_mov_b64 s[2:3], 0x1f8
	v_lshl_add_u64 v[28:29], v[2:3], 0, s[2:3]
	v_cndmask_b32_e64 v3, 0, v29, s[0:1]
	v_cndmask_b32_e64 v2, 0, v28, s[0:1]
	s_mov_b32 s2, 1
	s_branch .LBB0_11
.LBB0_10:
	v_mov_b64_e32 v[28:29], 0
                                        ; implicit-def: $vgpr34_vgpr35
                                        ; implicit-def: $vgpr32_vgpr33
	v_mov_b64_e32 v[2:3], 0
.LBB0_11:
	s_trap 2
	ds_read_b32 v12, v0
	s_waitcnt lgkmcnt(0)
	v_cmp_gt_i32_e32 vcc, 0, v12
	s_cbranch_vccnz .LBB0_13
; %bb.12:
	s_trap 2
	ds_read_b64 v[16:17], v0
	v_mov_b32_e32 v13, 0
	v_lshlrev_b64 v[12:13], 3, v[12:13]
	v_and_b32_e32 v15, 0xffff, v15
	s_movk_i32 s0, 0xa8
	s_waitcnt lgkmcnt(0)
	v_lshl_add_u64 v[12:13], v[16:17], 0, v[12:13]
	flat_load_dwordx2 v[12:13], v[12:13]
	v_cmp_eq_u32_e32 vcc, 0, v14
	s_waitcnt vmcnt(0) lgkmcnt(0)
	v_mad_u64_u32 v[26:27], s[0:1], v15, s0, v[12:13]
	flat_load_dwordx2 v[36:37], v[26:27]
	flat_load_dwordx2 v[16:17], v[26:27] offset:104
	v_cndmask_b32_e32 v55, 0, v27, vcc
	v_cndmask_b32_e32 v54, 0, v26, vcc
	s_branch .LBB0_14
.LBB0_13:
                                        ; implicit-def: $vgpr16_vgpr17
                                        ; implicit-def: $vgpr36_vgpr37
	v_mov_b64_e32 v[54:55], 0
.LBB0_14:
	v_subrev_u32_e32 v12, 64, v20
	v_cmp_ge_i32_e32 vcc, v0, v12
	v_cmp_gt_u32_e64 s[0:1], s2, v14
	s_and_b64 s[20:21], vcc, s[0:1]
	v_mov_b64_e32 v[12:13], 0
	v_mov_b64_e32 v[48:49], 0
                                        ; implicit-def: $vgpr38_vgpr39
	s_and_saveexec_b64 s[0:1], s[20:21]
	s_cbranch_execz .LBB0_16
; %bb.15:
	flat_load_dwordx2 v[48:49], v[2:3] offset:56
	flat_load_dwordx2 v[38:39], v[2:3] offset:104
.LBB0_16:
	s_or_b64 exec, exec, s[0:1]
	v_cmp_gt_u32_e64 s[0:1], s2, v0
	v_mov_b64_e32 v[50:51], 0
                                        ; implicit-def: $vgpr52_vgpr53
	s_and_saveexec_b64 s[2:3], s[0:1]
	s_cbranch_execz .LBB0_18
; %bb.17:
	flat_load_dwordx2 v[50:51], v[54:55] offset:56
	s_waitcnt vmcnt(0) lgkmcnt(0)
	flat_load_dwordx2 v[52:53], v[50:51] sc0 sc1
	s_waitcnt vmcnt(0)
	flat_load_dwordx4 v[12:15], v[54:55] offset:96
.LBB0_18:
	s_or_b64 exec, exec, s[2:3]
	v_mov_b64_e32 v[54:55], 0
	v_cmp_ne_u64_e32 vcc, 0, v[6:7]
	s_and_saveexec_b64 s[22:23], vcc
	s_cbranch_execnz .LBB0_22
; %bb.19:
	s_or_b64 exec, exec, s[22:23]
	s_and_saveexec_b64 s[2:3], s[20:21]
	s_cbranch_execnz .LBB0_212
.LBB0_20:
	s_or_b64 exec, exec, s[2:3]
	s_and_saveexec_b64 s[2:3], s[0:1]
	s_cbranch_execnz .LBB0_213
.LBB0_21:
	s_or_b64 exec, exec, s[2:3]
	v_cmp_ne_u32_e32 vcc, 64, v20
	s_and_saveexec_b64 s[0:1], vcc
	s_cbranch_execnz .LBB0_214
	s_branch .LBB0_231
.LBB0_22:
	v_alignbit_b32 v45, v1, v1, 1
	v_and_b32_e32 v46, 0x7fffffff, v45
	v_cvt_f32_u32_e32 v1, v46
	v_sub_u32_e32 v2, 0, v46
	s_ashr_i32 s19, s18, 31
	v_mov_b32_e32 v67, 0
	v_rcp_iflag_f32_e32 v1, v1
	v_lshlrev_b32_e32 v82, 3, v0
	v_mov_b32_e32 v83, v67
	v_mov_b32_e32 v21, v67
	v_mul_f32_e32 v1, 0x4f7ffffe, v1
	v_cvt_u32_f32_e32 v1, v1
	v_and_b32_e32 v64, 0x1fffff0, v64
	s_mov_b32 s25, 0
	v_mov_b32_e32 v65, v67
	v_mul_lo_u32 v2, v2, v1
	v_mul_hi_u32 v2, v1, v2
	v_add_u32_e32 v1, v1, v2
	v_mad_u64_u32 v[2:3], s[2:3], v1, -1, 0
	v_mul_lo_u32 v1, v3, v46
	v_not_b32_e32 v1, v1
	v_add_u32_e32 v2, 1, v3
	v_cmp_ge_u32_e32 vcc, v1, v46
	s_ashr_i32 s2, s4, 31
	s_lshr_b32 s2, s2, 29
	v_cndmask_b32_e32 v2, v3, v2, vcc
	v_sub_u32_e32 v3, v1, v46
	v_cndmask_b32_e32 v1, v1, v3, vcc
	v_add_u32_e32 v3, 1, v2
	v_cmp_ge_u32_e32 vcc, v1, v46
	s_add_i32 s4, s4, s2
	s_ashr_i32 s6, s4, 3
	v_cndmask_b32_e32 v30, v2, v3, vcc
	v_lshl_add_u64 v[2:3], v[18:19], 0, v[4:5]
	s_lshl_b64 s[2:3], s[18:19], 2
	s_ashr_i32 s90, s4, 7
	v_lshl_add_u64 v[68:69], v[2:3], 0, v[68:69]
	v_lshl_add_u64 v[2:3], v[22:23], 0, s[2:3]
	s_and_b32 s19, s6, -16
	v_and_b32_e32 v1, 63, v31
	v_lshl_add_u64 v[70:71], v[2:3], 0, -4
	v_cmp_eq_u32_e64 s[8:9], 0, v1
	s_cmp_gt_i32 s18, 2
	v_lshl_add_u64 v[2:3], v[24:25], 0, v[10:11]
	v_mov_b32_e32 v1, v67
	s_mov_b64 s[26:27], 0
	v_cmp_ne_u64_e64 s[2:3], 0, v[50:51]
	s_waitcnt vmcnt(0) lgkmcnt(0)
	v_cmp_ne_u64_e64 s[4:5], 0, v[12:13]
	v_cmp_ne_u32_e64 s[6:7], 64, v20
	v_cmp_ne_u32_sdwa s[28:29], v20, v44 src0_sel:DWORD src1_sel:WORD_0
	v_lshrrev_b32_e32 v80, 6, v20
	v_mov_b32_e32 v81, v67
	v_lshlrev_b32_e32 v84, 3, v20
	v_mov_b32_e32 v85, v67
	s_cselect_b64 s[40:41], -1, 0
	v_lshl_add_u64 v[86:87], v[10:11], 0, v[82:83]
	v_cmp_ne_u64_e64 s[10:11], 0, v[48:49]
	v_lshl_add_u64 v[8:9], v[8:9], 0, v[82:83]
	v_cmp_gt_i32_e64 s[12:13], 0, v45
	v_lshl_add_u64 v[96:97], v[2:3], 0, v[82:83]
	v_lshlrev_b32_e32 v47, 6, v20
	v_lshl_add_u64 v[98:99], v[0:1], 4, v[36:37]
	v_lshlrev_b64 v[100:101], 4, v[20:21]
	v_mov_b64_e32 v[102:103], 0
	s_mov_b64 s[42:43], 0x7ffffff8
	v_mov_b32_e32 v1, 1
	s_mov_b32 s91, 0x7020500
	s_mov_b32 s92, 0x6050400
	;; [unrolled: 1-line block ×5, first 2 shown]
	v_mov_b32_e32 v21, 0
	v_mov_b64_e32 v[54:55], 0
	s_branch .LBB0_24
.LBB0_23:                               ;   in Loop: Header=BB0_24 Depth=1
	s_or_b64 exec, exec, s[14:15]
	v_lshl_add_u64 v[102:103], v[102:103], 0, v[64:65]
	v_cmp_ge_u64_e32 vcc, v[102:103], v[6:7]
	v_lshl_add_u64 v[34:35], v[34:35], 0, 1
	s_or_b64 s[26:27], vcc, s[26:27]
	v_lshl_add_u64 v[96:97], v[96:97], 0, v[64:65]
	s_andn2_b64 exec, exec, s[26:27]
	s_cbranch_execz .LBB0_211
.LBB0_24:                               ; =>This Loop Header: Depth=1
                                        ;     Child Loop BB0_29 Depth 2
                                        ;     Child Loop BB0_48 Depth 2
	;; [unrolled: 1-line block ×5, first 2 shown]
                                        ;       Child Loop BB0_78 Depth 3
                                        ;       Child Loop BB0_97 Depth 3
                                        ;       Child Loop BB0_119 Depth 3
                                        ;         Child Loop BB0_127 Depth 4
                                        ;       Child Loop BB0_141 Depth 3
                                        ;       Child Loop BB0_114 Depth 3
                                        ;     Child Loop BB0_157 Depth 2
                                        ;       Child Loop BB0_165 Depth 3
                                        ;     Child Loop BB0_199 Depth 2
	s_waitcnt vmcnt(0) lgkmcnt(0)
	flat_load_dword v4, v[70:71]
	v_sub_co_u32_e32 v2, vcc, v6, v102
	s_nop 1
	v_subb_co_u32_e32 v3, vcc, v7, v103, vcc
	v_cmp_lt_u64_e32 vcc, v[64:65], v[2:3]
	s_nop 1
	v_cndmask_b32_e32 v5, v2, v64, vcc
	v_lshl_add_u32 v2, v5, 1, 14
	v_and_b32_e32 v57, 0x7fffff0, v2
	s_and_saveexec_b64 s[16:17], s[2:3]
	s_cbranch_execz .LBB0_40
; %bb.25:                               ;   in Loop: Header=BB0_24 Depth=1
	v_lshl_add_u64 v[2:3], v[14:15], 0, 1
	v_lshl_add_u64 v[18:19], v[52:53], 0, 8
	v_cmp_lt_u64_e32 vcc, v[18:19], v[2:3]
	s_and_saveexec_b64 s[44:45], vcc
	s_cbranch_execz .LBB0_37
; %bb.26:                               ;   in Loop: Header=BB0_24 Depth=1
	s_mov_b32 s24, 0
	v_cmp_eq_u32_e32 vcc, 0, v21
	s_mov_b64 s[46:47], 0
                                        ; implicit-def: $sgpr56_sgpr57
                                        ; implicit-def: $sgpr58_sgpr59
                                        ; implicit-def: $sgpr60_sgpr61
	s_branch .LBB0_29
.LBB0_27:                               ;   in Loop: Header=BB0_29 Depth=2
	s_or_b64 exec, exec, s[78:79]
	s_andn2_b64 s[14:15], s[60:61], exec
	s_and_b64 s[60:61], s[74:75], exec
	s_or_b64 s[60:61], s[14:15], s[60:61]
	s_andn2_b64 s[14:15], s[58:59], exec
	s_and_b64 s[58:59], s[72:73], exec
	s_or_b64 s[58:59], s[14:15], s[58:59]
.LBB0_28:                               ;   in Loop: Header=BB0_29 Depth=2
	s_or_b64 exec, exec, s[62:63]
	s_and_b64 s[14:15], exec, s[58:59]
	s_or_b64 s[46:47], s[14:15], s[46:47]
	s_andn2_b64 s[14:15], s[56:57], exec
	s_and_b64 s[56:57], s[60:61], exec
	s_or_b64 s[56:57], s[14:15], s[56:57]
	s_andn2_b64 exec, exec, s[46:47]
	s_cbranch_execz .LBB0_34
.LBB0_29:                               ;   Parent Loop BB0_24 Depth=1
                                        ; =>  This Inner Loop Header: Depth=2
	s_sleep 1
	s_waitcnt vmcnt(0) lgkmcnt(0)
	flat_load_dwordx2 v[52:53], v[50:51] sc1
	v_mov_b32_e32 v21, 1
	s_or_b64 s[60:61], s[60:61], exec
	s_or_b64 s[58:59], s[58:59], exec
                                        ; implicit-def: $vgpr15
	s_and_saveexec_b64 s[62:63], vcc
	s_cbranch_execz .LBB0_28
; %bb.30:                               ;   in Loop: Header=BB0_29 Depth=2
	s_add_i32 s24, s24, 1
	s_cmpk_lg_i32 s24, 0x2710
	s_cselect_b64 s[76:77], -1, 0
	s_cmpk_eq_i32 s24, 0x2710
	s_mov_b64 s[72:73], -1
	s_mov_b64 s[74:75], -1
                                        ; implicit-def: $vgpr15
	s_cbranch_scc1 .LBB0_32
; %bb.31:                               ;   in Loop: Header=BB0_29 Depth=2
	v_mov_b32_e32 v21, 1
	s_and_saveexec_b64 s[78:79], s[76:77]
	s_cbranch_execz .LBB0_27
	s_branch .LBB0_33
.LBB0_32:                               ;   in Loop: Header=BB0_29 Depth=2
	s_trap 2
	ds_read_b64 v[18:19], v0
	s_andn2_b64 s[76:77], s[76:77], exec
	s_mov_b32 s24, 0
	s_mov_b64 s[74:75], 0
	s_waitcnt vmcnt(0) lgkmcnt(0)
	flat_load_dword v15, v[18:19] sc0 sc1
	s_waitcnt vmcnt(0) lgkmcnt(0)
	buffer_inv sc0 sc1
	v_cmp_eq_u32_e64 s[14:15], 0, v15
	s_and_b64 s[14:15], s[14:15], exec
	s_or_b64 s[76:77], s[76:77], s[14:15]
	v_mov_b32_e32 v21, 1
	s_and_saveexec_b64 s[78:79], s[76:77]
	s_cbranch_execz .LBB0_27
.LBB0_33:                               ;   in Loop: Header=BB0_29 Depth=2
	s_waitcnt vmcnt(0) lgkmcnt(0)
	v_lshl_add_u64 v[18:19], v[52:53], 0, 8
	v_cmp_ge_u64_e64 s[14:15], v[18:19], v[2:3]
	v_mov_b32_e32 v21, 0
	s_or_b64 s[74:75], s[74:75], exec
	s_orn2_b64 s[72:73], s[14:15], exec
	s_branch .LBB0_27
.LBB0_34:                               ;   in Loop: Header=BB0_24 Depth=1
	s_or_b64 exec, exec, s[46:47]
	s_xor_b64 s[14:15], s[56:57], -1
	s_and_saveexec_b64 s[46:47], s[14:15]
	s_xor_b64 s[14:15], exec, s[46:47]
	s_cbranch_execz .LBB0_36
; %bb.35:                               ;   in Loop: Header=BB0_24 Depth=1
	v_mov_b32_e32 v21, 1
	s_waitcnt lgkmcnt(0)
	ds_write_b32 v0, v15
	s_trap 2
.LBB0_36:                               ;   in Loop: Header=BB0_24 Depth=1
	s_or_b64 exec, exec, s[14:15]
.LBB0_37:                               ;   in Loop: Header=BB0_24 Depth=1
	s_or_b64 exec, exec, s[44:45]
	s_and_saveexec_b64 s[14:15], s[4:5]
	s_cbranch_execz .LBB0_39
; %bb.38:                               ;   in Loop: Header=BB0_24 Depth=1
	v_and_b32_e32 v66, 0x7ffffff8, v14
	v_mov_b32_e32 v15, s19
	v_cmp_eq_u64_e32 vcc, s[42:43], v[66:67]
	v_and_b32_e32 v14, 7, v14
	s_nop 0
	v_cndmask_b32_e32 v18, v57, v15, vcc
	v_ashrrev_i32_e32 v19, 31, v18
	v_mad_u64_u32 v[14:15], s[44:45], v14, 24, v[12:13]
	flat_store_dwordx2 v[14:15], v[18:19] offset:8 sc0 sc1
	s_waitcnt vmcnt(0)
.LBB0_39:                               ;   in Loop: Header=BB0_24 Depth=1
	s_or_b64 exec, exec, s[14:15]
	v_mov_b64_e32 v[14:15], v[2:3]
.LBB0_40:                               ;   in Loop: Header=BB0_24 Depth=1
	s_or_b64 exec, exec, s[16:17]
	s_and_saveexec_b64 s[14:15], s[6:7]
	s_cbranch_execz .LBB0_59
; %bb.41:                               ;   in Loop: Header=BB0_24 Depth=1
	s_and_saveexec_b64 s[16:17], s[28:29]
	s_xor_b64 s[16:17], exec, s[16:17]
	s_cbranch_execz .LBB0_56
; %bb.42:                               ;   in Loop: Header=BB0_24 Depth=1
	s_and_saveexec_b64 s[44:45], s[8:9]
	s_cbranch_execz .LBB0_55
; %bb.43:                               ;   in Loop: Header=BB0_24 Depth=1
	s_mov_b64 s[56:57], exec
	v_mbcnt_lo_u32_b32 v2, s56, 0
	v_mbcnt_hi_u32_b32 v2, s57, v2
	v_cmp_eq_u32_e32 vcc, 0, v2
	buffer_wbl2 sc1
	s_waitcnt vmcnt(0) lgkmcnt(0)
	buffer_inv sc1
	s_and_saveexec_b64 s[46:47], vcc
	s_cbranch_execz .LBB0_45
; %bb.44:                               ;   in Loop: Header=BB0_24 Depth=1
	s_bcnt1_i32_b64 s24, s[56:57]
	v_mov_b32_e32 v66, s24
	ds_add_u64 v0, v[66:67]
	s_trap 2
.LBB0_45:                               ;   in Loop: Header=BB0_24 Depth=1
	s_or_b64 exec, exec, s[46:47]
	s_trap 2
	ds_read_b64 v[2:3], v0
	s_waitcnt lgkmcnt(0)
	v_lshl_add_u64 v[54:55], v[54:55], 0, v[80:81]
	v_cmp_lt_u64_e32 vcc, v[2:3], v[54:55]
	s_and_saveexec_b64 s[46:47], vcc
	s_cbranch_execz .LBB0_54
; %bb.46:                               ;   in Loop: Header=BB0_24 Depth=1
	s_mov_b32 s24, 0
	s_mov_b64 s[56:57], 0
                                        ; implicit-def: $sgpr58_sgpr59
                                        ; implicit-def: $sgpr60_sgpr61
	s_branch .LBB0_48
.LBB0_47:                               ;   in Loop: Header=BB0_48 Depth=2
	s_or_b64 exec, exec, s[72:73]
	s_and_b64 s[62:63], exec, s[74:75]
	s_or_b64 s[56:57], s[62:63], s[56:57]
	s_andn2_b64 s[58:59], s[58:59], exec
	s_and_b64 s[62:63], s[60:61], exec
	s_or_b64 s[58:59], s[58:59], s[62:63]
	s_andn2_b64 exec, exec, s[56:57]
	s_cbranch_execz .LBB0_52
.LBB0_48:                               ;   Parent Loop BB0_24 Depth=1
                                        ; =>  This Inner Loop Header: Depth=2
	s_add_i32 s24, s24, 1
	s_cmpk_lg_i32 s24, 0x2710
	s_cselect_b64 s[62:63], -1, 0
	s_and_b64 vcc, exec, s[62:63]
	s_cbranch_vccz .LBB0_50
; %bb.49:                               ;   in Loop: Header=BB0_48 Depth=2
	s_mov_b64 s[74:75], -1
	s_or_b64 s[60:61], s[60:61], exec
	s_and_saveexec_b64 s[72:73], s[62:63]
	s_cbranch_execz .LBB0_47
	s_branch .LBB0_51
.LBB0_50:                               ;   in Loop: Header=BB0_48 Depth=2
	s_trap 2
	ds_read_b64 v[2:3], v0
	s_andn2_b64 s[62:63], s[62:63], exec
	s_mov_b32 s24, 0
	s_waitcnt lgkmcnt(0)
	flat_load_dword v2, v[2:3] sc0 sc1
	s_waitcnt vmcnt(0) lgkmcnt(0)
	buffer_inv sc0 sc1
	v_cmp_eq_u32_e32 vcc, 0, v2
	s_and_b64 s[72:73], vcc, exec
	s_or_b64 s[62:63], s[62:63], s[72:73]
	s_mov_b64 s[74:75], -1
	s_or_b64 s[60:61], s[60:61], exec
	s_and_saveexec_b64 s[72:73], s[62:63]
	s_cbranch_execz .LBB0_47
.LBB0_51:                               ;   in Loop: Header=BB0_48 Depth=2
	s_sleep 1
	s_trap 2
	ds_read_b64 v[2:3], v0
	s_waitcnt lgkmcnt(0)
	s_andn2_b64 s[60:61], s[60:61], exec
	v_cmp_ge_u64_e32 vcc, v[2:3], v[54:55]
	s_orn2_b64 s[74:75], vcc, exec
	s_branch .LBB0_47
.LBB0_52:                               ;   in Loop: Header=BB0_24 Depth=1
	s_or_b64 exec, exec, s[56:57]
	s_and_saveexec_b64 s[56:57], s[58:59]
	s_xor_b64 s[56:57], exec, s[56:57]
	s_cbranch_execz .LBB0_54
; %bb.53:                               ;   in Loop: Header=BB0_24 Depth=1
	ds_write_b32 v0, v1
	s_trap 2
.LBB0_54:                               ;   in Loop: Header=BB0_24 Depth=1
	s_or_b64 exec, exec, s[46:47]
	;;#ASMSTART
	s_wakeup
	;;#ASMEND
.LBB0_55:                               ;   in Loop: Header=BB0_24 Depth=1
	s_or_b64 exec, exec, s[44:45]
.LBB0_56:                               ;   in Loop: Header=BB0_24 Depth=1
	s_andn2_saveexec_b64 s[16:17], s[16:17]
	s_cbranch_execz .LBB0_58
; %bb.57:                               ;   in Loop: Header=BB0_24 Depth=1
	buffer_wbl2 sc1
	s_waitcnt vmcnt(0) lgkmcnt(0)
	buffer_inv sc1
	s_barrier
.LBB0_58:                               ;   in Loop: Header=BB0_24 Depth=1
	s_or_b64 exec, exec, s[16:17]
.LBB0_59:                               ;   in Loop: Header=BB0_24 Depth=1
	s_or_b64 exec, exec, s[14:15]
	v_sub_u32_e32 v56, v5, v82
	v_cmp_lt_i32_e64 s[14:15], 0, v56
	v_and_b32_e32 v19, 7, v16
	v_add_u32_e32 v3, 1, v16
	v_mov_b32_e32 v18, v0
	s_and_saveexec_b64 s[16:17], s[14:15]
	s_cbranch_execz .LBB0_67
; %bb.60:                               ;   in Loop: Header=BB0_24 Depth=1
	s_waitcnt vmcnt(0) lgkmcnt(0)
	v_ashrrev_i32_e32 v2, 31, v4
	v_mul_lo_u32 v114, v19, s90
	v_mad_u64_u32 v[112:113], s[44:45], v68, v4, v[96:97]
	v_mul_lo_u32 v5, v69, v4
	v_mul_lo_u32 v2, v68, v2
	v_ashrrev_i32_e32 v115, 31, v114
	v_add3_u32 v113, v5, v113, v2
	v_mul_lo_u32 v2, v68, v4
	v_add_lshl_u32 v116, v96, v2, 3
	v_lshl_add_u64 v[114:115], v[114:115], 4, v[98:99]
	s_mov_b64 s[44:45], 0
	v_mov_b32_e32 v117, v56
	v_mov_b32_e32 v18, v0
	s_branch .LBB0_62
.LBB0_61:                               ;   in Loop: Header=BB0_62 Depth=2
	s_or_b64 exec, exec, s[46:47]
	v_sub_u32_e32 v117, v117, v84
	s_waitcnt vmcnt(0)
	v_alignbit_b32 v2, v119, v2, v116
	v_alignbit_b32 v4, v118, v119, v116
	v_mov_b32_e32 v5, v3
	v_cmp_gt_i32_e32 vcc, 1, v117
	global_store_dwordx4 v[114:115], v[2:5], off
	v_add_u32_e32 v18, v18, v20
	v_lshl_add_u64 v[112:113], v[112:113], 0, v[84:85]
	v_add_u32_e32 v116, v116, v47
	s_or_b64 s[44:45], vcc, s[44:45]
	v_lshl_add_u64 v[114:115], v[114:115], 0, v[100:101]
	buffer_wbl2 sc0 sc1
	s_waitcnt vmcnt(0)
	s_andn2_b64 exec, exec, s[44:45]
	s_cbranch_execz .LBB0_66
.LBB0_62:                               ;   Parent Loop BB0_24 Depth=1
                                        ; =>  This Inner Loop Header: Depth=2
	v_and_b32_e32 v4, -4, v112
	v_mov_b32_e32 v5, v113
	global_load_dword v2, v[4:5], off nt
	v_min_u32_e32 v66, 8, v117
	v_and_b32_e32 v118, 3, v112
	v_add_u32_e32 v66, v118, v66
	v_cmp_lt_u32_e32 vcc, 4, v66
	v_mov_b32_e32 v118, 0
	v_mov_b32_e32 v119, 0
	s_and_saveexec_b64 s[46:47], vcc
	s_cbranch_execz .LBB0_64
; %bb.63:                               ;   in Loop: Header=BB0_62 Depth=2
	global_load_dword v119, v[4:5], off offset:4 nt
.LBB0_64:                               ;   in Loop: Header=BB0_62 Depth=2
	s_or_b64 exec, exec, s[46:47]
	v_cmp_lt_u64_e32 vcc, 8, v[66:67]
	s_and_saveexec_b64 s[46:47], vcc
	s_cbranch_execz .LBB0_61
; %bb.65:                               ;   in Loop: Header=BB0_62 Depth=2
	global_load_dword v118, v[4:5], off offset:8 nt
	s_branch .LBB0_61
.LBB0_66:                               ;   in Loop: Header=BB0_24 Depth=1
	s_or_b64 exec, exec, s[44:45]
.LBB0_67:                               ;   in Loop: Header=BB0_24 Depth=1
	s_or_b64 exec, exec, s[16:17]
	v_and_b32_e32 v66, 0x7ffffff8, v16
	v_cmp_eq_u64_e32 vcc, s[42:43], v[66:67]
	v_cmp_gt_i32_e64 s[16:17], s90, v18
	s_and_b64 s[44:45], vcc, s[16:17]
	s_and_saveexec_b64 s[16:17], s[44:45]
	s_cbranch_execz .LBB0_70
; %bb.68:                               ;   in Loop: Header=BB0_24 Depth=1
	s_waitcnt vmcnt(0) lgkmcnt(0)
	v_mul_lo_u32 v4, v19, s90
	v_ashrrev_i32_e32 v5, 31, v4
	v_ashrrev_i32_e32 v19, 31, v18
	v_lshlrev_b64 v[4:5], 4, v[4:5]
	v_lshl_add_u64 v[4:5], v[18:19], 4, v[4:5]
	v_mov_b32_e32 v2, v67
	v_lshl_add_u64 v[112:113], v[36:37], 0, v[4:5]
	s_mov_b64 s[44:45], 0
.LBB0_69:                               ;   Parent Loop BB0_24 Depth=1
                                        ; =>  This Inner Loop Header: Depth=2
	v_add_u32_e32 v18, v18, v20
	v_mov_b32_e32 v4, v2
	v_mov_b32_e32 v5, v3
	v_cmp_le_i32_e32 vcc, s90, v18
	global_store_dwordx4 v[112:113], v[2:5], off
	s_or_b64 s[44:45], vcc, s[44:45]
	v_lshl_add_u64 v[112:113], v[112:113], 0, v[100:101]
	buffer_wbl2 sc0 sc1
	s_waitcnt vmcnt(0)
	s_andn2_b64 exec, exec, s[44:45]
	s_cbranch_execnz .LBB0_69
.LBB0_70:                               ;   in Loop: Header=BB0_24 Depth=1
	s_or_b64 exec, exec, s[16:17]
	v_lshl_add_u64 v[112:113], v[102:103], 0, v[24:25]
	s_andn2_b64 vcc, exec, s[40:41]
	v_lshl_add_u64 v[114:115], v[16:17], 0, 1
	s_cbranch_vccnz .LBB0_152
; %bb.71:                               ;   in Loop: Header=BB0_24 Depth=1
	v_lshl_add_u64 v[116:117], v[86:87], 0, v[112:113]
	v_add_u16_e32 v58, 1, v16
	s_mov_b32 s30, 2
	s_branch .LBB0_73
.LBB0_72:                               ;   in Loop: Header=BB0_73 Depth=2
	s_or_b64 exec, exec, s[16:17]
	s_add_i32 s30, s30, 1
	v_lshl_add_u64 v[34:35], v[34:35], 0, 1
	v_lshl_add_u64 v[114:115], v[114:115], 0, 1
	s_cmp_eq_u32 s30, s18
	v_add_u16_e32 v58, 1, v58
	s_cbranch_scc1 .LBB0_152
.LBB0_73:                               ;   Parent Loop BB0_24 Depth=1
                                        ; =>  This Loop Header: Depth=2
                                        ;       Child Loop BB0_78 Depth 3
                                        ;       Child Loop BB0_97 Depth 3
	;; [unrolled: 1-line block ×3, first 2 shown]
                                        ;         Child Loop BB0_127 Depth 4
                                        ;       Child Loop BB0_141 Depth 3
                                        ;       Child Loop BB0_114 Depth 3
	s_sub_i32 s24, s18, s30
	s_lshl_b64 s[16:17], s[24:25], 2
	v_lshl_add_u64 v[2:3], v[22:23], 0, s[16:17]
	flat_load_dword v16, v[2:3]
	s_and_saveexec_b64 s[44:45], s[2:3]
	s_cbranch_execz .LBB0_89
; %bb.74:                               ;   in Loop: Header=BB0_73 Depth=2
	v_lshl_add_u64 v[2:3], v[14:15], 0, 1
	s_waitcnt vmcnt(0) lgkmcnt(0)
	v_lshl_add_u64 v[4:5], v[52:53], 0, 8
	v_cmp_lt_u64_e32 vcc, v[4:5], v[2:3]
	s_and_saveexec_b64 s[46:47], vcc
	s_cbranch_execz .LBB0_86
; %bb.75:                               ;   in Loop: Header=BB0_73 Depth=2
	s_mov_b32 s24, 0
	v_cmp_eq_u32_e32 vcc, 0, v21
	s_mov_b64 s[56:57], 0
                                        ; implicit-def: $sgpr58_sgpr59
                                        ; implicit-def: $sgpr60_sgpr61
                                        ; implicit-def: $sgpr62_sgpr63
	s_branch .LBB0_78
.LBB0_76:                               ;   in Loop: Header=BB0_78 Depth=3
	s_or_b64 exec, exec, s[88:89]
	s_andn2_b64 s[16:17], s[62:63], exec
	s_and_b64 s[62:63], s[76:77], exec
	s_or_b64 s[62:63], s[16:17], s[62:63]
	s_andn2_b64 s[16:17], s[60:61], exec
	s_and_b64 s[60:61], s[74:75], exec
	s_or_b64 s[60:61], s[16:17], s[60:61]
.LBB0_77:                               ;   in Loop: Header=BB0_78 Depth=3
	s_or_b64 exec, exec, s[72:73]
	s_and_b64 s[16:17], exec, s[60:61]
	s_or_b64 s[56:57], s[16:17], s[56:57]
	s_andn2_b64 s[16:17], s[58:59], exec
	s_and_b64 s[58:59], s[62:63], exec
	s_or_b64 s[58:59], s[16:17], s[58:59]
	s_andn2_b64 exec, exec, s[56:57]
	s_cbranch_execz .LBB0_83
.LBB0_78:                               ;   Parent Loop BB0_24 Depth=1
                                        ;     Parent Loop BB0_73 Depth=2
                                        ; =>    This Inner Loop Header: Depth=3
	s_sleep 1
	s_waitcnt vmcnt(0) lgkmcnt(0)
	flat_load_dwordx2 v[52:53], v[50:51] sc1
	v_mov_b32_e32 v21, 1
	s_or_b64 s[62:63], s[62:63], exec
	s_or_b64 s[60:61], s[60:61], exec
                                        ; implicit-def: $vgpr4
	s_and_saveexec_b64 s[72:73], vcc
	s_cbranch_execz .LBB0_77
; %bb.79:                               ;   in Loop: Header=BB0_78 Depth=3
	s_add_i32 s24, s24, 1
	s_cmpk_lg_i32 s24, 0x2710
	s_cselect_b64 s[78:79], -1, 0
	s_cmpk_eq_i32 s24, 0x2710
	s_mov_b64 s[74:75], -1
	s_mov_b64 s[76:77], -1
                                        ; implicit-def: $vgpr4
	s_cbranch_scc1 .LBB0_81
; %bb.80:                               ;   in Loop: Header=BB0_78 Depth=3
	v_mov_b32_e32 v21, 1
	s_and_saveexec_b64 s[88:89], s[78:79]
	s_cbranch_execz .LBB0_76
	s_branch .LBB0_82
.LBB0_81:                               ;   in Loop: Header=BB0_78 Depth=3
	s_trap 2
	ds_read_b64 v[4:5], v0
	s_andn2_b64 s[78:79], s[78:79], exec
	s_mov_b32 s24, 0
	s_mov_b64 s[76:77], 0
	s_waitcnt vmcnt(0) lgkmcnt(0)
	flat_load_dword v4, v[4:5] sc0 sc1
	s_waitcnt vmcnt(0) lgkmcnt(0)
	buffer_inv sc0 sc1
	v_cmp_eq_u32_e64 s[16:17], 0, v4
	s_and_b64 s[16:17], s[16:17], exec
	s_or_b64 s[78:79], s[78:79], s[16:17]
	v_mov_b32_e32 v21, 1
	s_and_saveexec_b64 s[88:89], s[78:79]
	s_cbranch_execz .LBB0_76
.LBB0_82:                               ;   in Loop: Header=BB0_78 Depth=3
	s_waitcnt vmcnt(0) lgkmcnt(0)
	v_lshl_add_u64 v[18:19], v[52:53], 0, 8
	v_cmp_ge_u64_e64 s[16:17], v[18:19], v[2:3]
	v_mov_b32_e32 v21, 0
	s_or_b64 s[76:77], s[76:77], exec
	s_orn2_b64 s[74:75], s[16:17], exec
	s_branch .LBB0_76
.LBB0_83:                               ;   in Loop: Header=BB0_73 Depth=2
	s_or_b64 exec, exec, s[56:57]
	s_xor_b64 s[16:17], s[58:59], -1
	s_and_saveexec_b64 s[56:57], s[16:17]
	s_xor_b64 s[16:17], exec, s[56:57]
	s_cbranch_execz .LBB0_85
; %bb.84:                               ;   in Loop: Header=BB0_73 Depth=2
	v_mov_b32_e32 v21, 1
	s_waitcnt lgkmcnt(0)
	ds_write_b32 v0, v4
	s_trap 2
.LBB0_85:                               ;   in Loop: Header=BB0_73 Depth=2
	s_or_b64 exec, exec, s[16:17]
.LBB0_86:                               ;   in Loop: Header=BB0_73 Depth=2
	s_or_b64 exec, exec, s[46:47]
	s_and_saveexec_b64 s[16:17], s[4:5]
	s_cbranch_execz .LBB0_88
; %bb.87:                               ;   in Loop: Header=BB0_73 Depth=2
	v_and_b32_e32 v66, 0x7ffffff8, v14
	v_mov_b32_e32 v4, s19
	v_cmp_eq_u64_e32 vcc, s[42:43], v[66:67]
	v_and_b32_e32 v14, 7, v14
	v_mad_u64_u32 v[14:15], s[46:47], v14, 24, v[12:13]
	v_cndmask_b32_e32 v4, v57, v4, vcc
	v_ashrrev_i32_e32 v5, 31, v4
	flat_store_dwordx2 v[14:15], v[4:5] offset:8 sc0 sc1
	s_waitcnt vmcnt(0)
.LBB0_88:                               ;   in Loop: Header=BB0_73 Depth=2
	s_or_b64 exec, exec, s[16:17]
	v_mov_b64_e32 v[14:15], v[2:3]
.LBB0_89:                               ;   in Loop: Header=BB0_73 Depth=2
	s_or_b64 exec, exec, s[44:45]
	s_and_saveexec_b64 s[16:17], s[6:7]
	s_cbranch_execz .LBB0_108
; %bb.90:                               ;   in Loop: Header=BB0_73 Depth=2
	s_and_saveexec_b64 s[44:45], s[28:29]
	s_xor_b64 s[44:45], exec, s[44:45]
	s_cbranch_execz .LBB0_105
; %bb.91:                               ;   in Loop: Header=BB0_73 Depth=2
	s_and_saveexec_b64 s[46:47], s[8:9]
	s_cbranch_execz .LBB0_104
; %bb.92:                               ;   in Loop: Header=BB0_73 Depth=2
	s_mov_b64 s[58:59], exec
	v_mbcnt_lo_u32_b32 v2, s58, 0
	v_mbcnt_hi_u32_b32 v2, s59, v2
	v_cmp_eq_u32_e32 vcc, 0, v2
	buffer_wbl2 sc1
	s_waitcnt vmcnt(0) lgkmcnt(0)
	buffer_inv sc1
	s_and_saveexec_b64 s[56:57], vcc
	s_cbranch_execz .LBB0_94
; %bb.93:                               ;   in Loop: Header=BB0_73 Depth=2
	s_bcnt1_i32_b64 s24, s[58:59]
	v_mov_b32_e32 v66, s24
	ds_add_u64 v0, v[66:67]
	s_trap 2
.LBB0_94:                               ;   in Loop: Header=BB0_73 Depth=2
	s_or_b64 exec, exec, s[56:57]
	s_trap 2
	ds_read_b64 v[2:3], v0
	s_waitcnt lgkmcnt(0)
	v_lshl_add_u64 v[54:55], v[54:55], 0, v[80:81]
	v_cmp_lt_u64_e32 vcc, v[2:3], v[54:55]
	s_and_saveexec_b64 s[56:57], vcc
	s_cbranch_execz .LBB0_103
; %bb.95:                               ;   in Loop: Header=BB0_73 Depth=2
	s_mov_b32 s24, 0
	s_mov_b64 s[58:59], 0
                                        ; implicit-def: $sgpr60_sgpr61
                                        ; implicit-def: $sgpr62_sgpr63
	s_branch .LBB0_97
.LBB0_96:                               ;   in Loop: Header=BB0_97 Depth=3
	s_or_b64 exec, exec, s[74:75]
	s_and_b64 s[72:73], exec, s[76:77]
	s_or_b64 s[58:59], s[72:73], s[58:59]
	s_andn2_b64 s[60:61], s[60:61], exec
	s_and_b64 s[72:73], s[62:63], exec
	s_or_b64 s[60:61], s[60:61], s[72:73]
	s_andn2_b64 exec, exec, s[58:59]
	s_cbranch_execz .LBB0_101
.LBB0_97:                               ;   Parent Loop BB0_24 Depth=1
                                        ;     Parent Loop BB0_73 Depth=2
                                        ; =>    This Inner Loop Header: Depth=3
	s_add_i32 s24, s24, 1
	s_cmpk_lg_i32 s24, 0x2710
	s_cselect_b64 s[72:73], -1, 0
	s_and_b64 vcc, exec, s[72:73]
	s_cbranch_vccz .LBB0_99
; %bb.98:                               ;   in Loop: Header=BB0_97 Depth=3
	s_mov_b64 s[76:77], -1
	s_or_b64 s[62:63], s[62:63], exec
	s_and_saveexec_b64 s[74:75], s[72:73]
	s_cbranch_execz .LBB0_96
	s_branch .LBB0_100
.LBB0_99:                               ;   in Loop: Header=BB0_97 Depth=3
	s_trap 2
	ds_read_b64 v[2:3], v0
	s_andn2_b64 s[72:73], s[72:73], exec
	s_mov_b32 s24, 0
	s_waitcnt lgkmcnt(0)
	flat_load_dword v2, v[2:3] sc0 sc1
	s_waitcnt vmcnt(0) lgkmcnt(0)
	buffer_inv sc0 sc1
	v_cmp_eq_u32_e32 vcc, 0, v2
	s_and_b64 s[74:75], vcc, exec
	s_or_b64 s[72:73], s[72:73], s[74:75]
	s_mov_b64 s[76:77], -1
	s_or_b64 s[62:63], s[62:63], exec
	s_and_saveexec_b64 s[74:75], s[72:73]
	s_cbranch_execz .LBB0_96
.LBB0_100:                              ;   in Loop: Header=BB0_97 Depth=3
	s_sleep 1
	s_trap 2
	ds_read_b64 v[2:3], v0
	s_waitcnt lgkmcnt(0)
	s_andn2_b64 s[62:63], s[62:63], exec
	v_cmp_ge_u64_e32 vcc, v[2:3], v[54:55]
	s_orn2_b64 s[76:77], vcc, exec
	s_branch .LBB0_96
.LBB0_101:                              ;   in Loop: Header=BB0_73 Depth=2
	s_or_b64 exec, exec, s[58:59]
	s_and_saveexec_b64 s[58:59], s[60:61]
	s_xor_b64 s[58:59], exec, s[58:59]
	s_cbranch_execz .LBB0_103
; %bb.102:                              ;   in Loop: Header=BB0_73 Depth=2
	ds_write_b32 v0, v1
	s_trap 2
.LBB0_103:                              ;   in Loop: Header=BB0_73 Depth=2
	s_or_b64 exec, exec, s[56:57]
	;;#ASMSTART
	s_wakeup
	;;#ASMEND
.LBB0_104:                              ;   in Loop: Header=BB0_73 Depth=2
	s_or_b64 exec, exec, s[46:47]
.LBB0_105:                              ;   in Loop: Header=BB0_73 Depth=2
	s_andn2_saveexec_b64 s[44:45], s[44:45]
	s_cbranch_execz .LBB0_107
; %bb.106:                              ;   in Loop: Header=BB0_73 Depth=2
	buffer_wbl2 sc1
	s_waitcnt vmcnt(0) lgkmcnt(0)
	buffer_inv sc1
	s_barrier
.LBB0_107:                              ;   in Loop: Header=BB0_73 Depth=2
	s_or_b64 exec, exec, s[44:45]
.LBB0_108:                              ;   in Loop: Header=BB0_73 Depth=2
	s_or_b64 exec, exec, s[16:17]
	v_add_u32_e32 v3, 1, v114
	v_mov_b32_e32 v66, v0
	s_and_saveexec_b64 s[44:45], s[14:15]
	s_cbranch_execnz .LBB0_115
; %bb.109:                              ;   in Loop: Header=BB0_73 Depth=2
	s_or_b64 exec, exec, s[44:45]
	s_and_saveexec_b64 s[16:17], s[6:7]
	s_cbranch_execnz .LBB0_134
.LBB0_110:                              ;   in Loop: Header=BB0_73 Depth=2
	s_or_b64 exec, exec, s[16:17]
	s_and_saveexec_b64 s[16:17], s[10:11]
	s_cbranch_execz .LBB0_112
.LBB0_111:                              ;   in Loop: Header=BB0_73 Depth=2
	v_lshl_add_u64 v[38:39], v[38:39], 0, 1
	flat_store_dwordx2 v[48:49], v[38:39] sc0 sc1
.LBB0_112:                              ;   in Loop: Header=BB0_73 Depth=2
	s_or_b64 exec, exec, s[16:17]
	s_waitcnt vmcnt(0) lgkmcnt(0)
	v_and_b32_e32 v4, 0x7ffffff8, v114
	v_mov_b32_e32 v5, v67
	v_cmp_eq_u64_e32 vcc, s[42:43], v[4:5]
	v_cmp_gt_i32_e64 s[16:17], s90, v66
	s_and_b64 s[44:45], vcc, s[16:17]
	s_and_saveexec_b64 s[16:17], s[44:45]
	s_cbranch_execz .LBB0_72
; %bb.113:                              ;   in Loop: Header=BB0_73 Depth=2
	v_and_b32_e32 v2, 7, v58
	v_mul_lo_u32 v4, s90, v2
	v_ashrrev_i32_e32 v5, 31, v4
	v_lshlrev_b64 v[4:5], 4, v[4:5]
	v_ashrrev_i32_e32 v17, 31, v66
	v_mov_b32_e32 v16, v66
	v_lshl_add_u64 v[4:5], v[16:17], 4, v[4:5]
	v_mov_b32_e32 v2, v67
	v_lshl_add_u64 v[16:17], v[36:37], 0, v[4:5]
	s_mov_b64 s[44:45], 0
.LBB0_114:                              ;   Parent Loop BB0_24 Depth=1
                                        ;     Parent Loop BB0_73 Depth=2
                                        ; =>    This Inner Loop Header: Depth=3
	v_add_u32_e32 v66, v66, v20
	v_mov_b32_e32 v4, v2
	v_mov_b32_e32 v5, v3
	v_cmp_le_i32_e32 vcc, s90, v66
	global_store_dwordx4 v[16:17], v[2:5], off
	s_or_b64 s[44:45], vcc, s[44:45]
	v_lshl_add_u64 v[16:17], v[16:17], 0, v[100:101]
	buffer_wbl2 sc0 sc1
	s_waitcnt vmcnt(0)
	s_andn2_b64 exec, exec, s[44:45]
	s_cbranch_execnz .LBB0_114
	s_branch .LBB0_72
.LBB0_115:                              ;   in Loop: Header=BB0_73 Depth=2
	s_waitcnt vmcnt(0) lgkmcnt(0)
	v_ashrrev_i32_e32 v2, 31, v16
	v_mad_u64_u32 v[4:5], s[16:17], v68, v16, v[116:117]
	v_mul_lo_u32 v16, v69, v16
	v_mul_lo_u32 v2, v68, v2
	v_add3_u32 v5, v16, v5, v2
	v_and_b32_e32 v2, 7, v34
	v_mul_lo_u32 v16, v2, s90
	v_ashrrev_i32_e32 v17, 31, v16
	v_and_b32_e32 v2, 7, v114
	v_lshl_add_u64 v[118:119], v[16:17], 4, v[32:33]
	v_mul_lo_u32 v16, v2, s90
	v_ashrrev_i32_e32 v17, 31, v16
	v_add_u32_e32 v59, 1, v34
	v_lshl_add_u64 v[40:41], v[16:17], 4, v[36:37]
	s_mov_b64 s[46:47], 0
	v_mov_b32_e32 v60, v56
	v_mov_b32_e32 v66, v0
	s_branch .LBB0_119
.LBB0_116:                              ;   in Loop: Header=BB0_119 Depth=3
	s_or_b64 exec, exec, s[16:17]
.LBB0_117:                              ;   in Loop: Header=BB0_119 Depth=3
	s_or_b64 exec, exec, s[58:59]
.LBB0_118:                              ;   in Loop: Header=BB0_119 Depth=3
	s_or_b64 exec, exec, s[56:57]
	v_lshl_add_u64 v[42:43], v[4:5], 0, v[84:85]
	v_lshlrev_b32_e32 v4, 3, v4
	s_waitcnt vmcnt(1)
	v_alignbit_b32 v2, v62, v2, v4
	v_alignbit_b32 v4, v61, v62, v4
	s_waitcnt vmcnt(0)
	v_and_b32_e32 v5, 0xff00ff, v16
	v_and_b32_e32 v17, 0xff00ff, v2
	;; [unrolled: 1-line block ×4, first 2 shown]
	v_add_u32_e32 v5, v5, v17
	v_add_u32_e32 v2, v16, v2
	v_and_b32_e32 v16, 0xff00ff, v18
	v_and_b32_e32 v17, 0xff00ff, v4
	v_add_u32_e32 v19, v16, v17
	v_and_b32_e32 v16, 0xff00ff00, v18
	v_and_b32_e32 v4, 0xff00ff00, v4
	v_add_u32_e32 v4, v16, v4
	v_sub_u32_e32 v60, v60, v84
	v_lshl_add_u64 v[16:17], v[66:67], 4, v[40:41]
	v_perm_b32 v2, v2, v5, s91
	v_perm_b32 v4, v4, v19, s91
	v_mov_b32_e32 v5, v3
	v_cmp_gt_i32_e32 vcc, 1, v60
	global_store_dwordx4 v[16:17], v[2:5], off
	v_add_u32_e32 v66, v66, v20
	s_or_b64 s[46:47], vcc, s[46:47]
	v_mov_b64_e32 v[4:5], v[42:43]
	buffer_wbl2 sc0 sc1
	s_waitcnt vmcnt(0) lgkmcnt(0)
	s_andn2_b64 exec, exec, s[46:47]
	s_cbranch_execz .LBB0_133
.LBB0_119:                              ;   Parent Loop BB0_24 Depth=1
                                        ;     Parent Loop BB0_73 Depth=2
                                        ; =>    This Loop Header: Depth=3
                                        ;         Child Loop BB0_127 Depth 4
	v_and_b32_e32 v16, -4, v4
	v_mov_b32_e32 v17, v5
	global_load_dword v2, v[16:17], off nt
	v_min_u32_e32 v18, 8, v60
	v_and_b32_e32 v19, 3, v4
	v_add_u32_e32 v18, v19, v18
	v_cmp_lt_u32_e32 vcc, 4, v18
	v_mov_b32_e32 v61, 0
	v_mov_b32_e32 v62, 0
	s_and_saveexec_b64 s[16:17], vcc
	s_cbranch_execz .LBB0_121
; %bb.120:                              ;   in Loop: Header=BB0_119 Depth=3
	global_load_dword v62, v[16:17], off offset:4 nt
.LBB0_121:                              ;   in Loop: Header=BB0_119 Depth=3
	s_or_b64 exec, exec, s[16:17]
	v_mov_b32_e32 v19, v67
	v_cmp_lt_u64_e32 vcc, 8, v[18:19]
	s_and_saveexec_b64 s[16:17], vcc
	s_cbranch_execz .LBB0_123
; %bb.122:                              ;   in Loop: Header=BB0_119 Depth=3
	global_load_dword v61, v[16:17], off offset:8 nt
.LBB0_123:                              ;   in Loop: Header=BB0_119 Depth=3
	s_or_b64 exec, exec, s[16:17]
	v_lshl_add_u64 v[42:43], v[66:67], 4, v[118:119]
	global_load_dwordx4 v[16:19], v[42:43], off nt
	v_cmp_eq_u32_e32 vcc, 0, v21
	v_mov_b32_e32 v21, 1
	s_and_saveexec_b64 s[56:57], vcc
	s_cbranch_execz .LBB0_118
; %bb.124:                              ;   in Loop: Header=BB0_119 Depth=3
	s_waitcnt vmcnt(0)
	v_cmp_ne_u32_e32 vcc, v59, v17
	v_cmp_ne_u32_e64 s[16:17], v59, v19
	s_or_b64 s[16:17], vcc, s[16:17]
	v_mov_b32_e32 v21, 0
	s_and_saveexec_b64 s[58:59], s[16:17]
	s_cbranch_execz .LBB0_117
; %bb.125:                              ;   in Loop: Header=BB0_119 Depth=3
	s_mov_b32 s24, 1
	s_mov_b64 s[62:63], 0
                                        ; implicit-def: $sgpr60_sgpr61
                                        ; implicit-def: $sgpr72_sgpr73
	s_branch .LBB0_127
.LBB0_126:                              ;   in Loop: Header=BB0_127 Depth=4
	s_or_b64 exec, exec, s[76:77]
	s_and_b64 s[16:17], exec, s[16:17]
	s_or_b64 s[62:63], s[16:17], s[62:63]
	s_andn2_b64 s[16:17], s[60:61], exec
	s_and_b64 s[60:61], s[72:73], exec
	s_or_b64 s[60:61], s[16:17], s[60:61]
	s_andn2_b64 exec, exec, s[62:63]
	s_cbranch_execz .LBB0_131
.LBB0_127:                              ;   Parent Loop BB0_24 Depth=1
                                        ;     Parent Loop BB0_73 Depth=2
                                        ;       Parent Loop BB0_119 Depth=3
                                        ; =>      This Inner Loop Header: Depth=4
	global_load_dwordx4 v[16:19], v[42:43], off nt
	s_add_i32 s24, s24, 1
	s_mov_b64 s[16:17], -1
	s_cmpk_lg_i32 s24, 0x2710
	s_mov_b64 s[74:75], -1
                                        ; implicit-def: $vgpr63
	s_cbranch_scc0 .LBB0_129
; %bb.128:                              ;   in Loop: Header=BB0_127 Depth=4
	s_or_b64 s[72:73], s[72:73], exec
	s_and_saveexec_b64 s[76:77], s[74:75]
	s_cbranch_execz .LBB0_126
	s_branch .LBB0_130
.LBB0_129:                              ;   in Loop: Header=BB0_127 Depth=4
	s_trap 2
	ds_read_b64 v[72:73], v0
	s_mov_b32 s24, 0
	s_waitcnt vmcnt(0) lgkmcnt(0)
	flat_load_dword v63, v[72:73] sc0 sc1
	s_waitcnt vmcnt(0) lgkmcnt(0)
	buffer_inv sc0 sc1
	v_cmp_eq_u32_e32 vcc, 0, v63
	s_orn2_b64 s[74:75], vcc, exec
	s_or_b64 s[72:73], s[72:73], exec
	s_and_saveexec_b64 s[76:77], s[74:75]
	s_cbranch_execz .LBB0_126
.LBB0_130:                              ;   in Loop: Header=BB0_127 Depth=4
	s_waitcnt vmcnt(0)
	v_cmp_eq_u32_e32 vcc, v59, v17
	v_cmp_eq_u32_e64 s[16:17], v59, v19
	s_and_b64 s[16:17], vcc, s[16:17]
	s_andn2_b64 s[72:73], s[72:73], exec
	s_orn2_b64 s[16:17], s[16:17], exec
	s_branch .LBB0_126
.LBB0_131:                              ;   in Loop: Header=BB0_119 Depth=3
	s_or_b64 exec, exec, s[62:63]
	v_mov_b32_e32 v21, 0
	s_and_saveexec_b64 s[16:17], s[60:61]
	s_xor_b64 s[16:17], exec, s[16:17]
	s_cbranch_execz .LBB0_116
; %bb.132:                              ;   in Loop: Header=BB0_119 Depth=3
	v_mov_b32_e32 v21, 1
	ds_write_b32 v0, v63
	s_trap 2
	s_branch .LBB0_116
.LBB0_133:                              ;   in Loop: Header=BB0_73 Depth=2
	s_or_b64 exec, exec, s[46:47]
	s_or_b64 exec, exec, s[44:45]
	s_and_saveexec_b64 s[16:17], s[6:7]
	s_cbranch_execz .LBB0_110
.LBB0_134:                              ;   in Loop: Header=BB0_73 Depth=2
	s_and_saveexec_b64 s[44:45], s[28:29]
	s_xor_b64 s[44:45], exec, s[44:45]
	s_cbranch_execz .LBB0_149
; %bb.135:                              ;   in Loop: Header=BB0_73 Depth=2
	s_and_saveexec_b64 s[46:47], s[8:9]
	s_cbranch_execz .LBB0_148
; %bb.136:                              ;   in Loop: Header=BB0_73 Depth=2
	s_mov_b64 s[58:59], exec
	v_mbcnt_lo_u32_b32 v2, s58, 0
	v_mbcnt_hi_u32_b32 v2, s59, v2
	v_cmp_eq_u32_e32 vcc, 0, v2
	buffer_wbl2 sc1
	s_waitcnt vmcnt(0) lgkmcnt(0)
	buffer_inv sc1
	s_and_saveexec_b64 s[56:57], vcc
	s_cbranch_execz .LBB0_138
; %bb.137:                              ;   in Loop: Header=BB0_73 Depth=2
	s_bcnt1_i32_b64 s24, s[58:59]
	v_mov_b32_e32 v4, s24
	v_mov_b32_e32 v5, v67
	ds_add_u64 v0, v[4:5]
	s_trap 2
.LBB0_138:                              ;   in Loop: Header=BB0_73 Depth=2
	s_or_b64 exec, exec, s[56:57]
	s_trap 2
	ds_read_b64 v[4:5], v0
	s_waitcnt lgkmcnt(0)
	v_lshl_add_u64 v[54:55], v[54:55], 0, v[80:81]
	v_cmp_lt_u64_e32 vcc, v[4:5], v[54:55]
	s_and_saveexec_b64 s[56:57], vcc
	s_cbranch_execz .LBB0_147
; %bb.139:                              ;   in Loop: Header=BB0_73 Depth=2
	s_mov_b32 s24, 0
	s_mov_b64 s[58:59], 0
                                        ; implicit-def: $sgpr60_sgpr61
                                        ; implicit-def: $sgpr62_sgpr63
	s_branch .LBB0_141
.LBB0_140:                              ;   in Loop: Header=BB0_141 Depth=3
	s_or_b64 exec, exec, s[74:75]
	s_and_b64 s[72:73], exec, s[76:77]
	s_or_b64 s[58:59], s[72:73], s[58:59]
	s_andn2_b64 s[60:61], s[60:61], exec
	s_and_b64 s[72:73], s[62:63], exec
	s_or_b64 s[60:61], s[60:61], s[72:73]
	s_andn2_b64 exec, exec, s[58:59]
	s_cbranch_execz .LBB0_145
.LBB0_141:                              ;   Parent Loop BB0_24 Depth=1
                                        ;     Parent Loop BB0_73 Depth=2
                                        ; =>    This Inner Loop Header: Depth=3
	s_add_i32 s24, s24, 1
	s_cmpk_lg_i32 s24, 0x2710
	s_cselect_b64 s[72:73], -1, 0
	s_and_b64 vcc, exec, s[72:73]
	s_cbranch_vccz .LBB0_143
; %bb.142:                              ;   in Loop: Header=BB0_141 Depth=3
	s_mov_b64 s[76:77], -1
	s_or_b64 s[62:63], s[62:63], exec
	s_and_saveexec_b64 s[74:75], s[72:73]
	s_cbranch_execz .LBB0_140
	s_branch .LBB0_144
.LBB0_143:                              ;   in Loop: Header=BB0_141 Depth=3
	s_trap 2
	ds_read_b64 v[4:5], v0
	s_andn2_b64 s[72:73], s[72:73], exec
	s_mov_b32 s24, 0
	s_waitcnt lgkmcnt(0)
	flat_load_dword v2, v[4:5] sc0 sc1
	s_waitcnt vmcnt(0) lgkmcnt(0)
	buffer_inv sc0 sc1
	v_cmp_eq_u32_e32 vcc, 0, v2
	s_and_b64 s[74:75], vcc, exec
	s_or_b64 s[72:73], s[72:73], s[74:75]
	s_mov_b64 s[76:77], -1
	s_or_b64 s[62:63], s[62:63], exec
	s_and_saveexec_b64 s[74:75], s[72:73]
	s_cbranch_execz .LBB0_140
.LBB0_144:                              ;   in Loop: Header=BB0_141 Depth=3
	s_sleep 1
	s_trap 2
	ds_read_b64 v[4:5], v0
	s_waitcnt lgkmcnt(0)
	s_andn2_b64 s[62:63], s[62:63], exec
	v_cmp_ge_u64_e32 vcc, v[4:5], v[54:55]
	s_orn2_b64 s[76:77], vcc, exec
	s_branch .LBB0_140
.LBB0_145:                              ;   in Loop: Header=BB0_73 Depth=2
	s_or_b64 exec, exec, s[58:59]
	s_and_saveexec_b64 s[58:59], s[60:61]
	s_xor_b64 s[58:59], exec, s[58:59]
	s_cbranch_execz .LBB0_147
; %bb.146:                              ;   in Loop: Header=BB0_73 Depth=2
	ds_write_b32 v0, v1
	s_trap 2
.LBB0_147:                              ;   in Loop: Header=BB0_73 Depth=2
	s_or_b64 exec, exec, s[56:57]
	;;#ASMSTART
	s_wakeup
	;;#ASMEND
.LBB0_148:                              ;   in Loop: Header=BB0_73 Depth=2
	s_or_b64 exec, exec, s[46:47]
.LBB0_149:                              ;   in Loop: Header=BB0_73 Depth=2
	s_andn2_saveexec_b64 s[44:45], s[44:45]
	s_cbranch_execz .LBB0_151
; %bb.150:                              ;   in Loop: Header=BB0_73 Depth=2
	buffer_wbl2 sc1
	s_waitcnt vmcnt(0) lgkmcnt(0)
	buffer_inv sc1
	s_barrier
.LBB0_151:                              ;   in Loop: Header=BB0_73 Depth=2
	s_or_b64 exec, exec, s[44:45]
	s_or_b64 exec, exec, s[16:17]
	s_and_saveexec_b64 s[16:17], s[10:11]
	s_cbranch_execnz .LBB0_111
	s_branch .LBB0_112
.LBB0_152:                              ;   in Loop: Header=BB0_24 Depth=1
	v_mov_b64_e32 v[16:17], v[114:115]
	s_and_saveexec_b64 s[16:17], s[14:15]
	s_cbranch_execnz .LBB0_155
; %bb.153:                              ;   in Loop: Header=BB0_24 Depth=1
	s_or_b64 exec, exec, s[16:17]
	s_and_saveexec_b64 s[14:15], s[6:7]
	s_cbranch_execnz .LBB0_192
.LBB0_154:                              ;   in Loop: Header=BB0_24 Depth=1
	s_or_b64 exec, exec, s[14:15]
	s_and_saveexec_b64 s[14:15], s[10:11]
	s_cbranch_execz .LBB0_23
	s_branch .LBB0_210
.LBB0_155:                              ;   in Loop: Header=BB0_24 Depth=1
	flat_load_dword v66, v[22:23]
	s_waitcnt vmcnt(0) lgkmcnt(0)
	v_and_b32_e32 v4, 7, v34
	v_mul_lo_u32 v4, v4, s90
	v_ashrrev_i32_e32 v5, 31, v4
	v_lshl_add_u64 v[2:3], v[10:11], 0, v[112:113]
	v_lshl_add_u64 v[18:19], v[8:9], 0, v[112:113]
	;; [unrolled: 1-line block ×3, first 2 shown]
	v_add_u32_e32 v40, 1, v34
	s_mov_b64 s[44:45], 0
	v_mov_b32_e32 v116, v0
	v_ashrrev_i32_e32 v4, 31, v66
	v_mul_lo_u32 v5, v69, v66
	v_mad_u64_u32 v[2:3], s[14:15], v68, v66, v[2:3]
	v_mul_lo_u32 v4, v68, v4
	v_add3_u32 v3, v5, v3, v4
	v_lshl_add_u64 v[114:115], v[2:3], 0, v[82:83]
	s_branch .LBB0_157
.LBB0_156:                              ;   in Loop: Header=BB0_157 Depth=2
	v_sub_u32_e32 v56, v56, v84
	v_cmp_gt_i32_e32 vcc, 1, v56
	v_lshl_add_u64 v[114:115], v[114:115], 0, v[84:85]
	v_lshl_add_u64 v[18:19], v[18:19], 0, v[84:85]
	s_or_b64 s[44:45], vcc, s[44:45]
	v_add_u32_e32 v116, v116, v20
	s_andn2_b64 exec, exec, s[44:45]
	s_cbranch_execz .LBB0_191
.LBB0_157:                              ;   Parent Loop BB0_24 Depth=1
                                        ; =>  This Loop Header: Depth=2
                                        ;       Child Loop BB0_165 Depth 3
	v_and_b32_e32 v2, -4, v114
	v_mov_b32_e32 v3, v115
	global_load_dword v41, v[2:3], off nt
	v_min_u32_e32 v4, 8, v56
	v_and_b32_e32 v5, 3, v114
	v_add_u32_e32 v66, v5, v4
	v_cmp_lt_u32_e32 vcc, 4, v66
	v_mov_b32_e32 v42, 0
	v_mov_b32_e32 v43, 0
	s_and_saveexec_b64 s[14:15], vcc
	s_cbranch_execz .LBB0_159
; %bb.158:                              ;   in Loop: Header=BB0_157 Depth=2
	global_load_dword v43, v[2:3], off offset:4 nt
.LBB0_159:                              ;   in Loop: Header=BB0_157 Depth=2
	s_or_b64 exec, exec, s[14:15]
	v_cmp_lt_u64_e32 vcc, 8, v[66:67]
	s_and_saveexec_b64 s[14:15], vcc
	s_cbranch_execz .LBB0_161
; %bb.160:                              ;   in Loop: Header=BB0_157 Depth=2
	global_load_dword v42, v[2:3], off offset:8 nt
.LBB0_161:                              ;   in Loop: Header=BB0_157 Depth=2
	s_or_b64 exec, exec, s[14:15]
	v_mov_b32_e32 v117, v67
	v_lshl_add_u64 v[118:119], v[116:117], 4, v[112:113]
	global_load_dwordx4 v[2:5], v[118:119], off nt
	v_cmp_eq_u32_e32 vcc, 0, v21
	v_mov_b32_e32 v21, 1
	s_and_saveexec_b64 s[46:47], vcc
	s_cbranch_execz .LBB0_173
; %bb.162:                              ;   in Loop: Header=BB0_157 Depth=2
	s_waitcnt vmcnt(0)
	v_cmp_ne_u32_e32 vcc, v40, v3
	v_cmp_ne_u32_e64 s[14:15], v40, v5
	s_or_b64 s[14:15], vcc, s[14:15]
	v_mov_b32_e32 v21, 0
	s_and_saveexec_b64 s[56:57], s[14:15]
	s_cbranch_execz .LBB0_172
; %bb.163:                              ;   in Loop: Header=BB0_157 Depth=2
	s_mov_b32 s24, 1
	s_mov_b64 s[60:61], 0
                                        ; implicit-def: $sgpr58_sgpr59
                                        ; implicit-def: $sgpr62_sgpr63
	s_branch .LBB0_165
.LBB0_164:                              ;   in Loop: Header=BB0_165 Depth=3
	s_or_b64 exec, exec, s[74:75]
	s_and_b64 s[14:15], exec, s[14:15]
	s_or_b64 s[60:61], s[14:15], s[60:61]
	s_andn2_b64 s[14:15], s[58:59], exec
	s_and_b64 s[58:59], s[62:63], exec
	s_or_b64 s[58:59], s[14:15], s[58:59]
	s_andn2_b64 exec, exec, s[60:61]
	s_cbranch_execz .LBB0_169
.LBB0_165:                              ;   Parent Loop BB0_24 Depth=1
                                        ;     Parent Loop BB0_157 Depth=2
                                        ; =>    This Inner Loop Header: Depth=3
	global_load_dwordx4 v[2:5], v[118:119], off nt
	s_add_i32 s24, s24, 1
	s_mov_b64 s[14:15], -1
	s_cmpk_lg_i32 s24, 0x2710
	s_mov_b64 s[72:73], -1
                                        ; implicit-def: $vgpr66
	s_cbranch_scc0 .LBB0_167
; %bb.166:                              ;   in Loop: Header=BB0_165 Depth=3
	s_or_b64 s[62:63], s[62:63], exec
	s_and_saveexec_b64 s[74:75], s[72:73]
	s_cbranch_execz .LBB0_164
	s_branch .LBB0_168
.LBB0_167:                              ;   in Loop: Header=BB0_165 Depth=3
	s_trap 2
	ds_read_b64 v[58:59], v0
	s_mov_b32 s24, 0
	s_waitcnt vmcnt(0) lgkmcnt(0)
	flat_load_dword v66, v[58:59] sc0 sc1
	s_waitcnt vmcnt(0) lgkmcnt(0)
	buffer_inv sc0 sc1
	v_cmp_eq_u32_e32 vcc, 0, v66
	s_orn2_b64 s[72:73], vcc, exec
	s_or_b64 s[62:63], s[62:63], exec
	s_and_saveexec_b64 s[74:75], s[72:73]
	s_cbranch_execz .LBB0_164
.LBB0_168:                              ;   in Loop: Header=BB0_165 Depth=3
	s_waitcnt vmcnt(0)
	v_cmp_eq_u32_e32 vcc, v40, v3
	v_cmp_eq_u32_e64 s[14:15], v40, v5
	s_and_b64 s[14:15], vcc, s[14:15]
	s_andn2_b64 s[62:63], s[62:63], exec
	s_orn2_b64 s[14:15], s[14:15], exec
	s_branch .LBB0_164
.LBB0_169:                              ;   in Loop: Header=BB0_157 Depth=2
	s_or_b64 exec, exec, s[60:61]
	v_mov_b32_e32 v21, 0
	s_and_saveexec_b64 s[14:15], s[58:59]
	s_xor_b64 s[14:15], exec, s[14:15]
	s_cbranch_execz .LBB0_171
; %bb.170:                              ;   in Loop: Header=BB0_157 Depth=2
	v_mov_b32_e32 v21, 1
	ds_write_b32 v0, v66
	s_trap 2
.LBB0_171:                              ;   in Loop: Header=BB0_157 Depth=2
	s_or_b64 exec, exec, s[14:15]
.LBB0_172:                              ;   in Loop: Header=BB0_157 Depth=2
	s_or_b64 exec, exec, s[56:57]
.LBB0_173:                              ;   in Loop: Header=BB0_157 Depth=2
	s_or_b64 exec, exec, s[46:47]
	s_waitcnt vmcnt(0)
	v_lshlrev_b32_e32 v3, 3, v114
	v_alignbit_b32 v5, v43, v41, v3
	v_alignbit_b32 v3, v42, v43, v3
	v_and_b32_e32 v66, 0xff00ff, v2
	v_and_b32_e32 v117, 0xff00ff, v5
	;; [unrolled: 1-line block ×4, first 2 shown]
	v_add_u32_e32 v66, v66, v117
	v_add_u32_e32 v5, v2, v5
	v_and_b32_e32 v2, 0xff00ff, v4
	v_and_b32_e32 v118, 0xff00ff, v3
	v_add_u32_e32 v118, v2, v118
	v_and_b32_e32 v2, 0xff00ff00, v4
	v_and_b32_e32 v3, 0xff00ff00, v3
	v_cmp_lt_i16_sdwa s[14:15], sext(v66), v67 src0_sel:BYTE_0 src1_sel:DWORD
	v_add_u32_e32 v119, v2, v3
	v_sub_u16_e32 v2, 0, v66
	s_and_b64 vcc, s[12:13], s[14:15]
	v_cndmask_b32_e32 v2, v66, v2, vcc
	v_and_b32_e32 v2, 0xff, v2
	v_mul_hi_u32 v3, v2, v30
	v_mul_lo_u32 v4, v46, v3
	v_sub_u32_e32 v2, v2, v4
	v_cmp_ge_u32_e64 s[14:15], v2, v46
	v_perm_b32 v117, v5, v66, s91
	v_and_b32_e32 v4, 0x8000, v117
	v_addc_co_u32_e64 v2, s[14:15], 0, v3, s[14:15]
	v_sub_u32_e32 v3, 0, v2
	v_cndmask_b32_e32 v2, v2, v3, vcc
	v_lshrrev_b32_e32 v3, 8, v5
	v_cmp_ne_u32_e32 vcc, 0, v4
	v_sub_u16_e32 v4, 0, v3
	s_and_b64 vcc, s[12:13], vcc
	v_cndmask_b32_e32 v3, v3, v4, vcc
	v_and_b32_e32 v3, 0xff, v3
	v_mul_hi_u32 v4, v3, v30
	v_mul_lo_u32 v42, v46, v4
	v_sub_u32_e32 v3, v3, v42
	v_cmp_ge_u32_e64 s[14:15], v3, v46
	v_lshrrev_b32_e32 v5, 24, v5
	v_perm_b32 v41, v119, v118, s91
	v_addc_co_u32_e64 v3, s[14:15], 0, v4, s[14:15]
	v_sub_u32_e32 v4, 0, v3
	v_cndmask_b32_e32 v3, v3, v4, vcc
	v_lshrrev_b32_e32 v4, 16, v66
	v_cmp_lt_i16_sdwa s[14:15], sext(v4), v67 src0_sel:BYTE_0 src1_sel:DWORD
	v_sub_u16_e32 v66, 0, v4
	s_and_b64 vcc, s[12:13], s[14:15]
	v_cndmask_b32_e32 v4, v4, v66, vcc
	v_and_b32_e32 v4, 0xff, v4
	v_mul_hi_u32 v66, v4, v30
	v_mul_lo_u32 v42, v46, v66
	v_sub_u32_e32 v4, v4, v42
	v_cmp_ge_u32_e64 s[14:15], v4, v46
	s_nop 1
	v_addc_co_u32_e64 v4, s[14:15], 0, v66, s[14:15]
	v_sub_u32_e32 v66, 0, v4
	v_cndmask_b32_e32 v4, v4, v66, vcc
	v_and_b32_e32 v66, v45, v117
	v_sub_u16_e32 v117, 0, v5
	v_cmp_lt_i32_e32 vcc, -1, v66
	s_nop 1
	v_cndmask_b32_e32 v5, v117, v5, vcc
	v_and_b32_e32 v5, 0xff, v5
	v_mul_hi_u32 v66, v5, v30
	v_mul_lo_u32 v117, v46, v66
	v_sub_u32_e32 v5, v5, v117
	v_cmp_ge_u32_e64 s[14:15], v5, v46
	s_nop 1
	v_addc_co_u32_e64 v5, s[14:15], 0, v66, s[14:15]
	v_sub_u32_e32 v66, 0, v5
	v_cmp_lt_i16_sdwa s[14:15], sext(v118), v67 src0_sel:BYTE_0 src1_sel:DWORD
	v_cndmask_b32_e32 v5, v66, v5, vcc
	v_sub_u16_e32 v66, 0, v118
	s_and_b64 vcc, s[12:13], s[14:15]
	v_cndmask_b32_e32 v66, v118, v66, vcc
	v_and_b32_e32 v66, 0xff, v66
	v_mul_hi_u32 v117, v66, v30
	v_mul_lo_u32 v42, v46, v117
	v_sub_u32_e32 v66, v66, v42
	v_cmp_ge_u32_e64 s[14:15], v66, v46
	v_and_b32_e32 v42, 0x8000, v41
	v_lshrrev_b32_e32 v118, 16, v118
	v_addc_co_u32_e64 v66, s[14:15], 0, v117, s[14:15]
	v_sub_u32_e32 v117, 0, v66
	v_cndmask_b32_e32 v66, v66, v117, vcc
	v_lshrrev_b32_e32 v117, 8, v119
	v_cmp_ne_u32_e32 vcc, 0, v42
	v_sub_u16_e32 v42, 0, v117
	s_and_b64 vcc, s[12:13], vcc
	v_cndmask_b32_e32 v117, v117, v42, vcc
	v_and_b32_e32 v117, 0xff, v117
	v_mul_hi_u32 v42, v117, v30
	v_mul_lo_u32 v43, v46, v42
	v_sub_u32_e32 v117, v117, v43
	v_cmp_ge_u32_e64 s[14:15], v117, v46
	v_lshrrev_b32_e32 v119, 24, v119
	v_and_b32_e32 v41, v45, v41
	v_addc_co_u32_e64 v117, s[14:15], 0, v42, s[14:15]
	v_sub_u32_e32 v42, 0, v117
	v_cmp_lt_i16_sdwa s[14:15], sext(v118), v67 src0_sel:BYTE_0 src1_sel:DWORD
	v_cndmask_b32_e32 v117, v117, v42, vcc
	v_sub_u16_e32 v42, 0, v118
	s_and_b64 vcc, s[12:13], s[14:15]
	v_cndmask_b32_e32 v118, v118, v42, vcc
	v_and_b32_e32 v118, 0xff, v118
	v_mul_hi_u32 v42, v118, v30
	v_mul_lo_u32 v43, v46, v42
	v_sub_u32_e32 v118, v118, v43
	v_cmp_ge_u32_e64 s[14:15], v118, v46
	s_nop 1
	v_addc_co_u32_e64 v118, s[14:15], 0, v42, s[14:15]
	v_sub_u32_e32 v42, 0, v118
	v_cndmask_b32_e32 v118, v118, v42, vcc
	v_sub_u16_e32 v42, 0, v119
	v_cmp_lt_i32_e32 vcc, -1, v41
	s_nop 1
	v_cndmask_b32_e32 v119, v42, v119, vcc
	v_and_b32_e32 v119, 0xff, v119
	v_mul_hi_u32 v41, v119, v30
	v_mul_lo_u32 v42, v46, v41
	v_sub_u32_e32 v119, v119, v42
	v_cmp_ge_u32_e64 s[14:15], v119, v46
	s_nop 1
	v_addc_co_u32_e64 v119, s[14:15], 0, v41, s[14:15]
	v_sub_u32_e32 v41, 0, v119
	v_cndmask_b32_e32 v119, v41, v119, vcc
	v_cmp_lt_u32_e32 vcc, 7, v56
	s_cmp_lg_u64 vcc, exec
	s_mov_b64 s[14:15], -1
	s_cbranch_scc0 .LBB0_183
; %bb.174:                              ;   in Loop: Header=BB0_157 Depth=2
	v_cmp_ne_u32_e64 s[14:15], 1, v56
	flat_store_byte v[18:19], v2
	s_and_saveexec_b64 s[46:47], s[14:15]
	s_cbranch_execnz .LBB0_185
; %bb.175:                              ;   in Loop: Header=BB0_157 Depth=2
	s_or_b64 exec, exec, s[46:47]
	v_cmp_lt_u32_e64 s[14:15], 2, v56
	s_and_saveexec_b64 s[46:47], s[14:15]
	s_cbranch_execnz .LBB0_186
.LBB0_176:                              ;   in Loop: Header=BB0_157 Depth=2
	s_or_b64 exec, exec, s[46:47]
	v_cmp_lt_u32_e64 s[14:15], 3, v56
	s_and_saveexec_b64 s[46:47], s[14:15]
	s_cbranch_execnz .LBB0_187
.LBB0_177:                              ;   in Loop: Header=BB0_157 Depth=2
	s_or_b64 exec, exec, s[46:47]
	v_cmp_lt_u32_e64 s[14:15], 4, v56
	s_and_saveexec_b64 s[46:47], s[14:15]
	s_cbranch_execnz .LBB0_188
.LBB0_178:                              ;   in Loop: Header=BB0_157 Depth=2
	s_or_b64 exec, exec, s[46:47]
	v_cmp_lt_u32_e64 s[14:15], 5, v56
	s_and_saveexec_b64 s[46:47], s[14:15]
	s_cbranch_execnz .LBB0_189
.LBB0_179:                              ;   in Loop: Header=BB0_157 Depth=2
	s_or_b64 exec, exec, s[46:47]
	v_cmp_lt_u32_e64 s[14:15], 6, v56
	s_and_saveexec_b64 s[46:47], s[14:15]
	s_cbranch_execnz .LBB0_190
.LBB0_180:                              ;   in Loop: Header=BB0_157 Depth=2
	s_or_b64 exec, exec, s[46:47]
	s_and_saveexec_b64 s[14:15], vcc
	s_cbranch_execz .LBB0_182
.LBB0_181:                              ;   in Loop: Header=BB0_157 Depth=2
	flat_store_byte v[18:19], v119 offset:7
.LBB0_182:                              ;   in Loop: Header=BB0_157 Depth=2
	s_or_b64 exec, exec, s[14:15]
	s_mov_b64 s[14:15], 0
.LBB0_183:                              ;   in Loop: Header=BB0_157 Depth=2
	s_and_b64 vcc, exec, s[14:15]
	s_cbranch_vccz .LBB0_156
; %bb.184:                              ;   in Loop: Header=BB0_157 Depth=2
	v_perm_b32 v4, v5, v4, s92
	v_lshlrev_b32_e32 v3, 8, v3
	v_perm_b32 v2, v4, v2, s93
	v_and_or_b32 v2, v3, s94, v2
	v_and_b32_e32 v3, 0xff, v118
	v_lshlrev_b32_e32 v5, 8, v117
	v_lshlrev_b32_e32 v4, 24, v119
	;; [unrolled: 1-line block ×3, first 2 shown]
	v_perm_b32 v5, v5, v66, s95
	v_or3_b32 v3, v4, v3, v5
	global_store_dwordx2 v[18:19], v[2:3], off
	s_branch .LBB0_156
.LBB0_185:                              ;   in Loop: Header=BB0_157 Depth=2
	flat_store_byte v[18:19], v3 offset:1
	s_or_b64 exec, exec, s[46:47]
	v_cmp_lt_u32_e64 s[14:15], 2, v56
	s_and_saveexec_b64 s[46:47], s[14:15]
	s_cbranch_execz .LBB0_176
.LBB0_186:                              ;   in Loop: Header=BB0_157 Depth=2
	flat_store_byte v[18:19], v4 offset:2
	s_or_b64 exec, exec, s[46:47]
	v_cmp_lt_u32_e64 s[14:15], 3, v56
	s_and_saveexec_b64 s[46:47], s[14:15]
	s_cbranch_execz .LBB0_177
.LBB0_187:                              ;   in Loop: Header=BB0_157 Depth=2
	flat_store_byte v[18:19], v5 offset:3
	s_or_b64 exec, exec, s[46:47]
	v_cmp_lt_u32_e64 s[14:15], 4, v56
	s_and_saveexec_b64 s[46:47], s[14:15]
	s_cbranch_execz .LBB0_178
.LBB0_188:                              ;   in Loop: Header=BB0_157 Depth=2
	flat_store_byte v[18:19], v66 offset:4
	s_or_b64 exec, exec, s[46:47]
	v_cmp_lt_u32_e64 s[14:15], 5, v56
	s_and_saveexec_b64 s[46:47], s[14:15]
	s_cbranch_execz .LBB0_179
.LBB0_189:                              ;   in Loop: Header=BB0_157 Depth=2
	flat_store_byte v[18:19], v117 offset:5
	s_or_b64 exec, exec, s[46:47]
	v_cmp_lt_u32_e64 s[14:15], 6, v56
	s_and_saveexec_b64 s[46:47], s[14:15]
	s_cbranch_execz .LBB0_180
.LBB0_190:                              ;   in Loop: Header=BB0_157 Depth=2
	flat_store_byte v[18:19], v118 offset:6
	s_or_b64 exec, exec, s[46:47]
	s_and_saveexec_b64 s[14:15], vcc
	s_cbranch_execnz .LBB0_181
	s_branch .LBB0_182
.LBB0_191:                              ;   in Loop: Header=BB0_24 Depth=1
	s_or_b64 exec, exec, s[44:45]
	s_or_b64 exec, exec, s[16:17]
	s_and_saveexec_b64 s[14:15], s[6:7]
	s_cbranch_execz .LBB0_154
.LBB0_192:                              ;   in Loop: Header=BB0_24 Depth=1
	s_and_saveexec_b64 s[16:17], s[28:29]
	s_xor_b64 s[16:17], exec, s[16:17]
	s_cbranch_execz .LBB0_207
; %bb.193:                              ;   in Loop: Header=BB0_24 Depth=1
	s_and_saveexec_b64 s[44:45], s[8:9]
	s_cbranch_execz .LBB0_206
; %bb.194:                              ;   in Loop: Header=BB0_24 Depth=1
	s_mov_b64 s[56:57], exec
	v_mbcnt_lo_u32_b32 v2, s56, 0
	v_mbcnt_hi_u32_b32 v2, s57, v2
	v_cmp_eq_u32_e32 vcc, 0, v2
	buffer_wbl2 sc1
	s_waitcnt vmcnt(0) lgkmcnt(0)
	buffer_inv sc1
	s_and_saveexec_b64 s[46:47], vcc
	s_cbranch_execz .LBB0_196
; %bb.195:                              ;   in Loop: Header=BB0_24 Depth=1
	s_bcnt1_i32_b64 s24, s[56:57]
	v_mov_b32_e32 v66, s24
	ds_add_u64 v0, v[66:67]
	s_trap 2
.LBB0_196:                              ;   in Loop: Header=BB0_24 Depth=1
	s_or_b64 exec, exec, s[46:47]
	s_trap 2
	ds_read_b64 v[2:3], v0
	s_waitcnt lgkmcnt(0)
	v_lshl_add_u64 v[54:55], v[54:55], 0, v[80:81]
	v_cmp_lt_u64_e32 vcc, v[2:3], v[54:55]
	s_and_saveexec_b64 s[46:47], vcc
	s_cbranch_execz .LBB0_205
; %bb.197:                              ;   in Loop: Header=BB0_24 Depth=1
	s_mov_b32 s24, 0
	s_mov_b64 s[56:57], 0
                                        ; implicit-def: $sgpr58_sgpr59
                                        ; implicit-def: $sgpr60_sgpr61
	s_branch .LBB0_199
.LBB0_198:                              ;   in Loop: Header=BB0_199 Depth=2
	s_or_b64 exec, exec, s[72:73]
	s_and_b64 s[62:63], exec, s[74:75]
	s_or_b64 s[56:57], s[62:63], s[56:57]
	s_andn2_b64 s[58:59], s[58:59], exec
	s_and_b64 s[62:63], s[60:61], exec
	s_or_b64 s[58:59], s[58:59], s[62:63]
	s_andn2_b64 exec, exec, s[56:57]
	s_cbranch_execz .LBB0_203
.LBB0_199:                              ;   Parent Loop BB0_24 Depth=1
                                        ; =>  This Inner Loop Header: Depth=2
	s_add_i32 s24, s24, 1
	s_cmpk_lg_i32 s24, 0x2710
	s_cselect_b64 s[62:63], -1, 0
	s_and_b64 vcc, exec, s[62:63]
	s_cbranch_vccz .LBB0_201
; %bb.200:                              ;   in Loop: Header=BB0_199 Depth=2
	s_mov_b64 s[74:75], -1
	s_or_b64 s[60:61], s[60:61], exec
	s_and_saveexec_b64 s[72:73], s[62:63]
	s_cbranch_execz .LBB0_198
	s_branch .LBB0_202
.LBB0_201:                              ;   in Loop: Header=BB0_199 Depth=2
	s_trap 2
	ds_read_b64 v[2:3], v0
	s_andn2_b64 s[62:63], s[62:63], exec
	s_mov_b32 s24, 0
	s_waitcnt lgkmcnt(0)
	flat_load_dword v2, v[2:3] sc0 sc1
	s_waitcnt vmcnt(0) lgkmcnt(0)
	buffer_inv sc0 sc1
	v_cmp_eq_u32_e32 vcc, 0, v2
	s_and_b64 s[72:73], vcc, exec
	s_or_b64 s[62:63], s[62:63], s[72:73]
	s_mov_b64 s[74:75], -1
	s_or_b64 s[60:61], s[60:61], exec
	s_and_saveexec_b64 s[72:73], s[62:63]
	s_cbranch_execz .LBB0_198
.LBB0_202:                              ;   in Loop: Header=BB0_199 Depth=2
	s_sleep 1
	s_trap 2
	ds_read_b64 v[2:3], v0
	s_waitcnt lgkmcnt(0)
	s_andn2_b64 s[60:61], s[60:61], exec
	v_cmp_ge_u64_e32 vcc, v[2:3], v[54:55]
	s_orn2_b64 s[74:75], vcc, exec
	s_branch .LBB0_198
.LBB0_203:                              ;   in Loop: Header=BB0_24 Depth=1
	s_or_b64 exec, exec, s[56:57]
	s_and_saveexec_b64 s[56:57], s[58:59]
	s_xor_b64 s[56:57], exec, s[56:57]
	s_cbranch_execz .LBB0_205
; %bb.204:                              ;   in Loop: Header=BB0_24 Depth=1
	ds_write_b32 v0, v1
	s_trap 2
.LBB0_205:                              ;   in Loop: Header=BB0_24 Depth=1
	s_or_b64 exec, exec, s[46:47]
	;;#ASMSTART
	s_wakeup
	;;#ASMEND
.LBB0_206:                              ;   in Loop: Header=BB0_24 Depth=1
	s_or_b64 exec, exec, s[44:45]
.LBB0_207:                              ;   in Loop: Header=BB0_24 Depth=1
	s_andn2_saveexec_b64 s[16:17], s[16:17]
	s_cbranch_execz .LBB0_209
; %bb.208:                              ;   in Loop: Header=BB0_24 Depth=1
	buffer_wbl2 sc1
	s_waitcnt vmcnt(0) lgkmcnt(0)
	buffer_inv sc1
	s_barrier
.LBB0_209:                              ;   in Loop: Header=BB0_24 Depth=1
	s_or_b64 exec, exec, s[16:17]
	s_or_b64 exec, exec, s[14:15]
	s_and_saveexec_b64 s[14:15], s[10:11]
	s_cbranch_execz .LBB0_23
.LBB0_210:                              ;   in Loop: Header=BB0_24 Depth=1
	v_lshl_add_u64 v[38:39], v[38:39], 0, 1
	flat_store_dwordx2 v[48:49], v[38:39] sc0 sc1
	s_branch .LBB0_23
.LBB0_211:
	s_or_b64 exec, exec, s[26:27]
	s_or_b64 exec, exec, s[22:23]
	s_and_saveexec_b64 s[2:3], s[20:21]
	s_cbranch_execz .LBB0_20
.LBB0_212:
	s_waitcnt vmcnt(0) lgkmcnt(0)
	flat_store_dwordx2 v[28:29], v[38:39] offset:104
	s_or_b64 exec, exec, s[2:3]
	s_and_saveexec_b64 s[2:3], s[0:1]
	s_cbranch_execz .LBB0_21
.LBB0_213:
	s_waitcnt vmcnt(0) lgkmcnt(0)
	flat_store_dwordx2 v[26:27], v[14:15] offset:104
	s_or_b64 exec, exec, s[2:3]
	v_cmp_ne_u32_e32 vcc, 64, v20
	s_and_saveexec_b64 s[0:1], vcc
	s_cbranch_execz .LBB0_231
.LBB0_214:
	v_cmp_ne_u32_sdwa s[2:3], v20, v44 src0_sel:DWORD src1_sel:WORD_0
	s_and_saveexec_b64 s[4:5], s[2:3]
	s_xor_b64 s[2:3], exec, s[4:5]
	s_cbranch_execz .LBB0_229
; %bb.215:
	v_and_b32_e32 v0, 63, v31
	v_cmp_eq_u32_e32 vcc, 0, v0
	s_and_saveexec_b64 s[4:5], vcc
	s_cbranch_execz .LBB0_228
; %bb.216:
	s_mov_b64 s[8:9], exec
	v_mbcnt_lo_u32_b32 v0, s8, 0
	v_mbcnt_hi_u32_b32 v0, s9, v0
	v_cmp_eq_u32_e32 vcc, 0, v0
	buffer_wbl2 sc1
	s_waitcnt vmcnt(0) lgkmcnt(0)
	buffer_inv sc1
	s_and_saveexec_b64 s[6:7], vcc
	s_cbranch_execz .LBB0_218
; %bb.217:
	s_bcnt1_i32_b64 s8, s[8:9]
	v_mov_b32_e32 v0, s8
	v_mov_b32_e32 v1, 0
	ds_add_u64 v0, v[0:1]
	s_trap 2
.LBB0_218:
	s_or_b64 exec, exec, s[6:7]
	s_trap 2
	ds_read_b64 v[2:3], v0
	s_waitcnt lgkmcnt(0)
	v_lshrrev_b32_e32 v0, 6, v20
	v_mov_b32_e32 v1, 0
	v_lshl_add_u64 v[0:1], v[54:55], 0, v[0:1]
	v_cmp_lt_u64_e32 vcc, v[2:3], v[0:1]
	s_and_saveexec_b64 s[6:7], vcc
	s_cbranch_execz .LBB0_227
; %bb.219:
	s_mov_b32 s20, 0
	s_mov_b64 s[8:9], 0
                                        ; implicit-def: $sgpr10_sgpr11
                                        ; implicit-def: $sgpr12_sgpr13
	s_branch .LBB0_221
.LBB0_220:                              ;   in Loop: Header=BB0_221 Depth=1
	s_or_b64 exec, exec, s[16:17]
	s_and_b64 s[14:15], exec, s[18:19]
	s_or_b64 s[8:9], s[14:15], s[8:9]
	s_andn2_b64 s[10:11], s[10:11], exec
	s_and_b64 s[14:15], s[12:13], exec
	s_or_b64 s[10:11], s[10:11], s[14:15]
	s_andn2_b64 exec, exec, s[8:9]
	s_cbranch_execz .LBB0_225
.LBB0_221:                              ; =>This Inner Loop Header: Depth=1
	s_add_i32 s20, s20, 1
	s_cmpk_lg_i32 s20, 0x2710
	s_cselect_b64 s[14:15], -1, 0
	s_and_b64 vcc, exec, s[14:15]
	s_cbranch_vccz .LBB0_223
; %bb.222:                              ;   in Loop: Header=BB0_221 Depth=1
	s_mov_b64 s[18:19], -1
	s_or_b64 s[12:13], s[12:13], exec
	s_and_saveexec_b64 s[16:17], s[14:15]
	s_cbranch_execz .LBB0_220
	s_branch .LBB0_224
.LBB0_223:                              ;   in Loop: Header=BB0_221 Depth=1
	s_trap 2
	ds_read_b64 v[2:3], v0
	s_andn2_b64 s[14:15], s[14:15], exec
	s_mov_b32 s20, 0
	s_waitcnt lgkmcnt(0)
	flat_load_dword v2, v[2:3] sc0 sc1
	s_waitcnt vmcnt(0) lgkmcnt(0)
	buffer_inv sc0 sc1
	v_cmp_eq_u32_e32 vcc, 0, v2
	s_and_b64 s[16:17], vcc, exec
	s_or_b64 s[14:15], s[14:15], s[16:17]
	s_mov_b64 s[18:19], -1
	s_or_b64 s[12:13], s[12:13], exec
	s_and_saveexec_b64 s[16:17], s[14:15]
	s_cbranch_execz .LBB0_220
.LBB0_224:                              ;   in Loop: Header=BB0_221 Depth=1
	s_sleep 1
	s_trap 2
	ds_read_b64 v[2:3], v0
	s_waitcnt lgkmcnt(0)
	s_andn2_b64 s[12:13], s[12:13], exec
	v_cmp_ge_u64_e32 vcc, v[2:3], v[0:1]
	s_orn2_b64 s[18:19], vcc, exec
	s_branch .LBB0_220
.LBB0_225:
	s_or_b64 exec, exec, s[8:9]
	s_and_saveexec_b64 s[8:9], s[10:11]
	s_xor_b64 s[8:9], exec, s[8:9]
	s_cbranch_execz .LBB0_227
; %bb.226:
	v_mov_b32_e32 v0, 1
	ds_write_b32 v0, v0
	s_trap 2
.LBB0_227:
	s_or_b64 exec, exec, s[6:7]
	;;#ASMSTART
	s_wakeup
	;;#ASMEND
.LBB0_228:
	s_or_b64 exec, exec, s[4:5]
.LBB0_229:
	s_andn2_saveexec_b64 s[2:3], s[2:3]
	s_cbranch_execz .LBB0_231
; %bb.230:
	buffer_wbl2 sc1
	s_waitcnt vmcnt(0) lgkmcnt(0)
	buffer_inv sc1
	s_barrier
.LBB0_231:
	s_or_b64 exec, exec, s[0:1]
	scratch_load_dword v73, off, s32        ; 4-byte Folded Reload
	scratch_load_dword v72, off, s32 offset:4 ; 4-byte Folded Reload
	scratch_load_dword v63, off, s32 offset:8 ; 4-byte Folded Reload
	scratch_load_dword v62, off, s32 offset:12 ; 4-byte Folded Reload
	scratch_load_dword v61, off, s32 offset:16 ; 4-byte Folded Reload
	scratch_load_dword v60, off, s32 offset:20 ; 4-byte Folded Reload
	scratch_load_dword v59, off, s32 offset:24 ; 4-byte Folded Reload
	scratch_load_dword v58, off, s32 offset:28 ; 4-byte Folded Reload
	scratch_load_dword v57, off, s32 offset:32 ; 4-byte Folded Reload
	scratch_load_dword v56, off, s32 offset:36 ; 4-byte Folded Reload
	scratch_load_dword v47, off, s32 offset:40 ; 4-byte Folded Reload
	scratch_load_dword v46, off, s32 offset:44 ; 4-byte Folded Reload
	scratch_load_dword v45, off, s32 offset:48 ; 4-byte Folded Reload
	scratch_load_dword v44, off, s32 offset:52 ; 4-byte Folded Reload
	scratch_load_dword v43, off, s32 offset:56 ; 4-byte Folded Reload
	scratch_load_dword v42, off, s32 offset:60 ; 4-byte Folded Reload
	scratch_load_dword v41, off, s32 offset:64 ; 4-byte Folded Reload
	scratch_load_dword v40, off, s32 offset:68 ; 4-byte Folded Reload
	v_readlane_b32 s30, v74, 0
	v_readlane_b32 s31, v74, 1
	s_or_saveexec_b64 s[0:1], -1
	scratch_load_dword v74, off, s32 offset:72 ; 4-byte Folded Reload
	s_mov_b64 exec, s[0:1]
	s_waitcnt vmcnt(0) lgkmcnt(0)
	s_setpc_b64 s[30:31]
.Lfunc_end0:
	.size	_ZN12_GLOBAL__N_17runRingIh14FuncSumPostDivIhE7ProtoLLLi0ELi1ELi0EEEviiP15ncclDevWorkColl, .Lfunc_end0-_ZN12_GLOBAL__N_17runRingIh14FuncSumPostDivIhE7ProtoLLLi0ELi1ELi0EEEviiP15ncclDevWorkColl
                                        ; -- End function
	.set .L_ZN12_GLOBAL__N_17runRingIh14FuncSumPostDivIhE7ProtoLLLi0ELi1ELi0EEEviiP15ncclDevWorkColl.num_vgpr, 120
	.set .L_ZN12_GLOBAL__N_17runRingIh14FuncSumPostDivIhE7ProtoLLLi0ELi1ELi0EEEviiP15ncclDevWorkColl.num_agpr, 0
	.set .L_ZN12_GLOBAL__N_17runRingIh14FuncSumPostDivIhE7ProtoLLLi0ELi1ELi0EEEviiP15ncclDevWorkColl.numbered_sgpr, 96
	.set .L_ZN12_GLOBAL__N_17runRingIh14FuncSumPostDivIhE7ProtoLLLi0ELi1ELi0EEEviiP15ncclDevWorkColl.num_named_barrier, 0
	.set .L_ZN12_GLOBAL__N_17runRingIh14FuncSumPostDivIhE7ProtoLLLi0ELi1ELi0EEEviiP15ncclDevWorkColl.private_seg_size, 80
	.set .L_ZN12_GLOBAL__N_17runRingIh14FuncSumPostDivIhE7ProtoLLLi0ELi1ELi0EEEviiP15ncclDevWorkColl.uses_vcc, 1
	.set .L_ZN12_GLOBAL__N_17runRingIh14FuncSumPostDivIhE7ProtoLLLi0ELi1ELi0EEEviiP15ncclDevWorkColl.uses_flat_scratch, 0
	.set .L_ZN12_GLOBAL__N_17runRingIh14FuncSumPostDivIhE7ProtoLLLi0ELi1ELi0EEEviiP15ncclDevWorkColl.has_dyn_sized_stack, 0
	.set .L_ZN12_GLOBAL__N_17runRingIh14FuncSumPostDivIhE7ProtoLLLi0ELi1ELi0EEEviiP15ncclDevWorkColl.has_recursion, 0
	.set .L_ZN12_GLOBAL__N_17runRingIh14FuncSumPostDivIhE7ProtoLLLi0ELi1ELi0EEEviiP15ncclDevWorkColl.has_indirect_call, 0
	.section	.AMDGPU.csdata,"",@progbits
; Function info:
; codeLenInByte = 8052
; TotalNumSgprs: 102
; NumVgprs: 120
; NumAgprs: 0
; TotalNumVgprs: 120
; ScratchSize: 80
; MemoryBound: 0
	.text
	.p2align	2                               ; -- Begin function _Z53ncclDevFunc_ReduceScatter_RING_LL_SumPostDiv_u8_0_0_1v
	.type	_Z53ncclDevFunc_ReduceScatter_RING_LL_SumPostDiv_u8_0_0_1v,@function
_Z53ncclDevFunc_ReduceScatter_RING_LL_SumPostDiv_u8_0_0_1v: ; @_Z53ncclDevFunc_ReduceScatter_RING_LL_SumPostDiv_u8_0_0_1v
; %bb.0:
	s_waitcnt vmcnt(0) expcnt(0) lgkmcnt(0)
	s_mov_b32 s0, s33
	s_mov_b32 s33, s32
	s_or_saveexec_b64 s[2:3], -1
	scratch_store_dword off, v42, s33 offset:12 ; 4-byte Folded Spill
	s_mov_b64 exec, s[2:3]
	v_writelane_b32 v42, s0, 8
	s_add_i32 s32, s32, 32
	scratch_store_dword off, v40, s33 offset:8 ; 4-byte Folded Spill
	scratch_store_dword off, v41, s33 offset:4 ; 4-byte Folded Spill
	scratch_store_dword off, v74, s33       ; 4-byte Folded Spill
	v_writelane_b32 v42, s34, 0
	v_writelane_b32 v42, s35, 1
	;; [unrolled: 1-line block ×7, first 2 shown]
	s_nop 1
	v_writelane_b32 v42, s31, 7
	s_trap 2
	ds_read_b32 v0, v0
	v_and_b32_e32 v40, 0x3ff, v31
	s_mov_b32 s36, s12
	s_mov_b64 s[34:35], s[8:9]
	s_waitcnt lgkmcnt(0)
	v_cmp_lt_i32_e32 vcc, v40, v0
	s_and_saveexec_b64 s[0:1], vcc
	s_cbranch_execz .LBB1_5
; %bb.1:
	s_load_dword s2, s[34:35], 0x0
	v_mov_b32_e32 v1, 0
	v_mov_b32_e32 v4, v40
                                        ; implicit-def: $vgpr2
	s_waitcnt lgkmcnt(0)
	s_cmp_lt_u32 s36, s2
	s_cselect_b32 s2, 12, 18
	s_add_u32 s2, s34, s2
	s_addc_u32 s3, s35, 0
	global_load_ushort v1, v1, s[2:3]
	s_trap 2
	ds_read_b32 v3, v0
	s_mov_b64 s[2:3], 0
	s_waitcnt vmcnt(0) lgkmcnt(0)
	v_mul_lo_u32 v3, v3, v1
	s_branch .LBB1_3
.LBB1_2:                                ;   in Loop: Header=BB1_3 Depth=1
	s_or_b64 exec, exec, s[4:5]
	v_add_u32_e32 v4, v4, v1
	v_cmp_ge_i32_e32 vcc, v4, v0
	s_or_b64 s[2:3], vcc, s[2:3]
	v_add_u32_e32 v2, v2, v3
	s_andn2_b64 exec, exec, s[2:3]
	s_cbranch_execz .LBB1_5
.LBB1_3:                                ; =>This Inner Loop Header: Depth=1
	ds_read_b32 v5, v2
	s_waitcnt lgkmcnt(0)
	v_and_b32_e32 v5, 0x1000000, v5
	v_cmp_ne_u32_e32 vcc, 0, v5
	s_and_saveexec_b64 s[4:5], vcc
	s_cbranch_execz .LBB1_2
; %bb.4:                                ;   in Loop: Header=BB1_3 Depth=1
	ds_read_b64 v[6:7], v2 offset:104
	s_waitcnt lgkmcnt(0)
	flat_load_dwordx2 v[6:7], v[6:7]
	s_waitcnt vmcnt(0) lgkmcnt(0)
	ds_write_b64 v2, v[6:7] offset:104
	s_branch .LBB1_2
.LBB1_5:
	s_or_b64 exec, exec, s[0:1]
	s_waitcnt lgkmcnt(0)
	s_barrier
	s_trap 2
	ds_read_b32 v0, v0
	s_waitcnt lgkmcnt(0)
	v_cmp_gt_i32_e32 vcc, 1, v0
	s_cbranch_vccnz .LBB1_13
; %bb.6:
	s_mov_b32 s37, 0
	v_mov_b32_e32 v41, 6
	s_branch .LBB1_8
.LBB1_7:                                ;   in Loop: Header=BB1_8 Depth=1
	s_or_b64 exec, exec, s[38:39]
	s_trap 2
	ds_read_b32 v0, v0
	s_add_i32 s37, s37, 1
	s_waitcnt lgkmcnt(0)
	v_cmp_lt_i32_e32 vcc, s37, v0
	s_cbranch_vccz .LBB1_13
.LBB1_8:                                ; =>This Inner Loop Header: Depth=1
	s_trap 2
	ds_read_b32 v0, v0
	s_cmp_eq_u32 s37, 0
	s_cbranch_scc1 .LBB1_11
; %bb.9:                                ;   in Loop: Header=BB1_8 Depth=1
	s_trap 2
	s_waitcnt lgkmcnt(0)
	ds_read_b32 v1, v0
	s_waitcnt lgkmcnt(0)
	v_xor_b32_e32 v1, v1, v0
	v_and_b32_e32 v1, 0xff0000, v1
	v_cmp_eq_u32_e32 vcc, 0, v1
	s_cbranch_vccnz .LBB1_11
; %bb.10:                               ;   in Loop: Header=BB1_8 Depth=1
	s_barrier
	ds_read_b32 v0, v0
.LBB1_11:                               ;   in Loop: Header=BB1_8 Depth=1
	s_waitcnt lgkmcnt(0)
	v_lshlrev_b32_sdwa v1, v41, v0 dst_sel:DWORD dst_unused:UNUSED_PAD src0_sel:DWORD src1_sel:BYTE_2
	v_cmp_lt_u32_e32 vcc, v40, v1
	s_and_saveexec_b64 s[38:39], vcc
	s_cbranch_execz .LBB1_7
; %bb.12:                               ;   in Loop: Header=BB1_8 Depth=1
	s_mov_b64 s[0:1], src_shared_base
	s_getpc_b64 s[2:3]
	s_add_u32 s2, s2, _ZN12_GLOBAL__N_17runRingIh14FuncSumPostDivIhE7ProtoLLLi0ELi1ELi0EEEviiP15ncclDevWorkColl@rel32@lo+4
	s_addc_u32 s3, s3, _ZN12_GLOBAL__N_17runRingIh14FuncSumPostDivIhE7ProtoLLLi0ELi1ELi0EEEviiP15ncclDevWorkColl@rel32@hi+12
	s_mov_b64 s[8:9], s[34:35]
	s_mov_b32 s12, s36
	v_mov_b32_e32 v0, v40
	v_mov_b32_e32 v3, s1
	s_swappc_b64 s[30:31], s[2:3]
	s_branch .LBB1_7
.LBB1_13:
	scratch_load_dword v74, off, s33        ; 4-byte Folded Reload
	scratch_load_dword v41, off, s33 offset:4 ; 4-byte Folded Reload
	scratch_load_dword v40, off, s33 offset:8 ; 4-byte Folded Reload
	v_readlane_b32 s30, v42, 6
	v_readlane_b32 s31, v42, 7
	;; [unrolled: 1-line block ×8, first 2 shown]
	s_mov_b32 s32, s33
	v_readlane_b32 s0, v42, 8
	s_or_saveexec_b64 s[2:3], -1
	scratch_load_dword v42, off, s33 offset:12 ; 4-byte Folded Reload
	s_mov_b64 exec, s[2:3]
	s_mov_b32 s33, s0
	s_waitcnt vmcnt(0)
	s_setpc_b64 s[30:31]
.Lfunc_end1:
	.size	_Z53ncclDevFunc_ReduceScatter_RING_LL_SumPostDiv_u8_0_0_1v, .Lfunc_end1-_Z53ncclDevFunc_ReduceScatter_RING_LL_SumPostDiv_u8_0_0_1v
                                        ; -- End function
	.set .L_Z53ncclDevFunc_ReduceScatter_RING_LL_SumPostDiv_u8_0_0_1v.num_vgpr, max(75, .L_ZN12_GLOBAL__N_17runRingIh14FuncSumPostDivIhE7ProtoLLLi0ELi1ELi0EEEviiP15ncclDevWorkColl.num_vgpr)
	.set .L_Z53ncclDevFunc_ReduceScatter_RING_LL_SumPostDiv_u8_0_0_1v.num_agpr, max(0, .L_ZN12_GLOBAL__N_17runRingIh14FuncSumPostDivIhE7ProtoLLLi0ELi1ELi0EEEviiP15ncclDevWorkColl.num_agpr)
	.set .L_Z53ncclDevFunc_ReduceScatter_RING_LL_SumPostDiv_u8_0_0_1v.numbered_sgpr, max(40, .L_ZN12_GLOBAL__N_17runRingIh14FuncSumPostDivIhE7ProtoLLLi0ELi1ELi0EEEviiP15ncclDevWorkColl.numbered_sgpr)
	.set .L_Z53ncclDevFunc_ReduceScatter_RING_LL_SumPostDiv_u8_0_0_1v.num_named_barrier, max(0, .L_ZN12_GLOBAL__N_17runRingIh14FuncSumPostDivIhE7ProtoLLLi0ELi1ELi0EEEviiP15ncclDevWorkColl.num_named_barrier)
	.set .L_Z53ncclDevFunc_ReduceScatter_RING_LL_SumPostDiv_u8_0_0_1v.private_seg_size, 32+max(.L_ZN12_GLOBAL__N_17runRingIh14FuncSumPostDivIhE7ProtoLLLi0ELi1ELi0EEEviiP15ncclDevWorkColl.private_seg_size)
	.set .L_Z53ncclDevFunc_ReduceScatter_RING_LL_SumPostDiv_u8_0_0_1v.uses_vcc, or(1, .L_ZN12_GLOBAL__N_17runRingIh14FuncSumPostDivIhE7ProtoLLLi0ELi1ELi0EEEviiP15ncclDevWorkColl.uses_vcc)
	.set .L_Z53ncclDevFunc_ReduceScatter_RING_LL_SumPostDiv_u8_0_0_1v.uses_flat_scratch, or(0, .L_ZN12_GLOBAL__N_17runRingIh14FuncSumPostDivIhE7ProtoLLLi0ELi1ELi0EEEviiP15ncclDevWorkColl.uses_flat_scratch)
	.set .L_Z53ncclDevFunc_ReduceScatter_RING_LL_SumPostDiv_u8_0_0_1v.has_dyn_sized_stack, or(0, .L_ZN12_GLOBAL__N_17runRingIh14FuncSumPostDivIhE7ProtoLLLi0ELi1ELi0EEEviiP15ncclDevWorkColl.has_dyn_sized_stack)
	.set .L_Z53ncclDevFunc_ReduceScatter_RING_LL_SumPostDiv_u8_0_0_1v.has_recursion, or(1, .L_ZN12_GLOBAL__N_17runRingIh14FuncSumPostDivIhE7ProtoLLLi0ELi1ELi0EEEviiP15ncclDevWorkColl.has_recursion)
	.set .L_Z53ncclDevFunc_ReduceScatter_RING_LL_SumPostDiv_u8_0_0_1v.has_indirect_call, or(0, .L_ZN12_GLOBAL__N_17runRingIh14FuncSumPostDivIhE7ProtoLLLi0ELi1ELi0EEEviiP15ncclDevWorkColl.has_indirect_call)
	.section	.AMDGPU.csdata,"",@progbits
; Function info:
; codeLenInByte = 700
; TotalNumSgprs: 102
; NumVgprs: 120
; NumAgprs: 0
; TotalNumVgprs: 120
; ScratchSize: 112
; MemoryBound: 0
	.text
	.p2align	2                               ; -- Begin function _ZN12_GLOBAL__N_17runRingIh14FuncSumPostDivIhE7ProtoLLLi0ELi2ELi0EEEviiP15ncclDevWorkColl
	.type	_ZN12_GLOBAL__N_17runRingIh14FuncSumPostDivIhE7ProtoLLLi0ELi2ELi0EEEviiP15ncclDevWorkColl,@function
_ZN12_GLOBAL__N_17runRingIh14FuncSumPostDivIhE7ProtoLLLi0ELi2ELi0EEEviiP15ncclDevWorkColl: ; @_ZN12_GLOBAL__N_17runRingIh14FuncSumPostDivIhE7ProtoLLLi0ELi2ELi0EEEviiP15ncclDevWorkColl
; %bb.0:
	s_waitcnt vmcnt(0) expcnt(0) lgkmcnt(0)
	s_or_saveexec_b64 s[0:1], -1
	scratch_store_dword off, v74, s32 offset:72 ; 4-byte Folded Spill
	s_mov_b64 exec, s[0:1]
	scratch_store_dword off, v40, s32 offset:68 ; 4-byte Folded Spill
	scratch_store_dword off, v41, s32 offset:64 ; 4-byte Folded Spill
	;; [unrolled: 1-line block ×17, first 2 shown]
	scratch_store_dword off, v73, s32       ; 4-byte Folded Spill
	v_writelane_b32 v74, s30, 0
	s_nop 1
	v_writelane_b32 v74, s31, 1
	s_trap 2
	flat_load_dword v9, v[2:3]
	flat_load_dwordx4 v[4:7], v[2:3] offset:72
	flat_load_dwordx2 v[18:19], v[2:3] offset:88
	s_movk_i32 s0, 0xff
	v_mov_b32_e32 v20, v1
	ds_read_b32 v1, v0
	ds_read_b64 v[22:23], v0
                                        ; implicit-def: $vgpr64_vgpr65
                                        ; implicit-def: $vgpr24_vgpr25
	s_waitcnt lgkmcnt(0)
	v_readfirstlane_b32 s18, v1
	s_waitcnt vmcnt(0)
	v_bitop3_b32 v8, v9, s0, v9 bitop3:0x3f
	v_add_u32_sdwa v10, v9, v8 dst_sel:DWORD dst_unused:UNUSED_PAD src0_sel:BYTE_1 src1_sel:DWORD
	v_ashrrev_i32_e32 v11, 31, v10
	v_mul_lo_u32 v12, v7, v10
	v_mad_u64_u32 v[68:69], s[0:1], v6, v10, 0
	v_mul_lo_u32 v10, v6, v11
	v_add3_u32 v69, v69, v10, v12
	v_cmp_ne_u32_sdwa s[0:1], v1, v9 src0_sel:DWORD src1_sel:BYTE_0
	s_and_saveexec_b64 s[2:3], s[0:1]
	s_xor_b64 s[0:1], exec, s[2:3]
	s_cbranch_execz .LBB2_6
; %bb.1:
	v_cmp_ne_u32_sdwa s[2:3], v1, v9 src0_sel:DWORD src1_sel:BYTE_1
                                        ; implicit-def: $vgpr64_vgpr65
                                        ; implicit-def: $vgpr24_vgpr25
	s_and_saveexec_b64 s[4:5], s[2:3]
	s_xor_b64 s[2:3], exec, s[4:5]
	s_cbranch_execz .LBB2_3
; %bb.2:
	flat_load_dwordx2 v[10:11], v[2:3] offset:96
	v_add_u32_e32 v1, v1, v8
	v_ashrrev_i32_e32 v8, 31, v1
	v_mul_lo_u32 v8, v6, v8
	v_mul_lo_u32 v9, v7, v1
	v_mad_u64_u32 v[24:25], s[4:5], v6, v1, v[4:5]
	v_add3_u32 v25, v9, v25, v8
	s_waitcnt vmcnt(0) lgkmcnt(0)
	v_lshrrev_b64 v[64:65], 17, v[10:11]
.LBB2_3:
	s_andn2_saveexec_b64 s[2:3], s[2:3]
	s_cbranch_execz .LBB2_5
; %bb.4:
	flat_load_dword v1, v[2:3] offset:100
	v_lshl_add_u64 v[24:25], v[68:69], 0, v[4:5]
	v_mov_b64_e32 v[6:7], v[18:19]
	s_waitcnt vmcnt(0) lgkmcnt(0)
	v_lshrrev_b32_e32 v64, 6, v1
.LBB2_5:
	s_or_b64 exec, exec, s[2:3]
.LBB2_6:
	s_andn2_saveexec_b64 s[0:1], s[0:1]
	s_cbranch_execz .LBB2_8
; %bb.7:
	flat_load_dwordx2 v[6:7], v[2:3] offset:96
	v_mov_b64_e32 v[24:25], 0
	s_waitcnt vmcnt(0) lgkmcnt(0)
	v_lshlrev_b64 v[64:65], 4, v[6:7]
	v_mov_b64_e32 v[6:7], v[4:5]
.LBB2_8:
	s_or_b64 exec, exec, s[0:1]
	s_load_dword s0, s[8:9], 0x0
	flat_load_dword v1, v[2:3] offset:104
	flat_load_ushort v13, v[2:3] offset:8
	flat_load_dword v12, v[2:3] offset:4
	flat_load_dwordx4 v[8:11], v[2:3] offset:16
	v_mov_b32_e32 v3, 0
	v_and_b32_e32 v14, 63, v0
	s_mov_b32 s2, 0
	s_waitcnt lgkmcnt(0)
	s_cmp_lt_u32 s12, s0
	s_cselect_b32 s0, 12, 18
	s_add_u32 s0, s8, s0
	s_addc_u32 s1, s9, 0
	global_load_ushort v44, v3, s[0:1]
	s_trap 2
	ds_read_b32 v2, v0
	v_mov_b64_e32 v[26:27], 0
	v_cmp_eq_u32_e64 s[0:1], 0, v14
	s_waitcnt lgkmcnt(0)
	v_cmp_gt_i32_e32 vcc, 0, v2
	v_readfirstlane_b32 s4, v2
	s_waitcnt vmcnt(0)
	v_lshrrev_b64 v[12:13], 31, v[12:13]
	v_and_b32_e32 v15, 3, v12
	s_cbranch_vccnz .LBB2_10
; %bb.9:
	s_trap 2
	ds_read_b64 v[12:13], v0
	v_lshlrev_b64 v[2:3], 3, v[2:3]
	s_movk_i32 s2, 0xa8
	s_waitcnt lgkmcnt(0)
	v_lshl_add_u64 v[2:3], v[12:13], 0, v[2:3]
	flat_load_dwordx2 v[2:3], v[2:3]
	v_and_b32_e32 v12, 0xffff, v15
	s_waitcnt vmcnt(0) lgkmcnt(0)
	v_mad_u64_u32 v[2:3], s[2:3], v12, s2, v[2:3]
	flat_load_dwordx2 v[32:33], v[2:3] offset:504
	flat_load_dwordx2 v[34:35], v[2:3] offset:608
	s_mov_b64 s[2:3], 0x1f8
	v_lshl_add_u64 v[28:29], v[2:3], 0, s[2:3]
	v_cndmask_b32_e64 v3, 0, v29, s[0:1]
	v_cndmask_b32_e64 v2, 0, v28, s[0:1]
	s_mov_b32 s2, 1
	s_branch .LBB2_11
.LBB2_10:
	v_mov_b64_e32 v[28:29], 0
                                        ; implicit-def: $vgpr34_vgpr35
                                        ; implicit-def: $vgpr32_vgpr33
	v_mov_b64_e32 v[2:3], 0
.LBB2_11:
	s_trap 2
	ds_read_b32 v12, v0
	s_waitcnt lgkmcnt(0)
	v_cmp_gt_i32_e32 vcc, 0, v12
	s_cbranch_vccnz .LBB2_13
; %bb.12:
	s_trap 2
	ds_read_b64 v[16:17], v0
	v_mov_b32_e32 v13, 0
	v_lshlrev_b64 v[12:13], 3, v[12:13]
	v_and_b32_e32 v15, 0xffff, v15
	s_movk_i32 s0, 0xa8
	s_waitcnt lgkmcnt(0)
	v_lshl_add_u64 v[12:13], v[16:17], 0, v[12:13]
	flat_load_dwordx2 v[12:13], v[12:13]
	v_cmp_eq_u32_e32 vcc, 0, v14
	s_waitcnt vmcnt(0) lgkmcnt(0)
	v_mad_u64_u32 v[26:27], s[0:1], v15, s0, v[12:13]
	flat_load_dwordx2 v[36:37], v[26:27]
	flat_load_dwordx2 v[16:17], v[26:27] offset:104
	v_cndmask_b32_e32 v55, 0, v27, vcc
	v_cndmask_b32_e32 v54, 0, v26, vcc
	s_branch .LBB2_14
.LBB2_13:
                                        ; implicit-def: $vgpr16_vgpr17
                                        ; implicit-def: $vgpr36_vgpr37
	v_mov_b64_e32 v[54:55], 0
.LBB2_14:
	v_subrev_u32_e32 v12, 64, v20
	v_cmp_ge_i32_e32 vcc, v0, v12
	v_cmp_gt_u32_e64 s[0:1], s2, v14
	s_and_b64 s[20:21], vcc, s[0:1]
	v_mov_b64_e32 v[12:13], 0
	v_mov_b64_e32 v[48:49], 0
                                        ; implicit-def: $vgpr38_vgpr39
	s_and_saveexec_b64 s[0:1], s[20:21]
	s_cbranch_execz .LBB2_16
; %bb.15:
	flat_load_dwordx2 v[48:49], v[2:3] offset:56
	flat_load_dwordx2 v[38:39], v[2:3] offset:104
.LBB2_16:
	s_or_b64 exec, exec, s[0:1]
	v_cmp_gt_u32_e64 s[0:1], s2, v0
	v_mov_b64_e32 v[50:51], 0
                                        ; implicit-def: $vgpr52_vgpr53
	s_and_saveexec_b64 s[2:3], s[0:1]
	s_cbranch_execz .LBB2_18
; %bb.17:
	flat_load_dwordx2 v[50:51], v[54:55] offset:56
	s_waitcnt vmcnt(0) lgkmcnt(0)
	flat_load_dwordx2 v[52:53], v[50:51] sc0 sc1
	s_waitcnt vmcnt(0)
	flat_load_dwordx4 v[12:15], v[54:55] offset:96
.LBB2_18:
	s_or_b64 exec, exec, s[2:3]
	v_mov_b64_e32 v[54:55], 0
	v_cmp_ne_u64_e32 vcc, 0, v[6:7]
	s_and_saveexec_b64 s[22:23], vcc
	s_cbranch_execnz .LBB2_22
; %bb.19:
	s_or_b64 exec, exec, s[22:23]
	s_and_saveexec_b64 s[2:3], s[20:21]
	s_cbranch_execnz .LBB2_212
.LBB2_20:
	s_or_b64 exec, exec, s[2:3]
	s_and_saveexec_b64 s[2:3], s[0:1]
	s_cbranch_execnz .LBB2_213
.LBB2_21:
	s_or_b64 exec, exec, s[2:3]
	v_cmp_ne_u32_e32 vcc, 64, v20
	s_and_saveexec_b64 s[0:1], vcc
	s_cbranch_execnz .LBB2_214
	s_branch .LBB2_231
.LBB2_22:
	v_alignbit_b32 v45, v1, v1, 1
	v_and_b32_e32 v46, 0x7fffffff, v45
	v_cvt_f32_u32_e32 v1, v46
	v_sub_u32_e32 v2, 0, v46
	s_ashr_i32 s19, s18, 31
	v_mov_b32_e32 v67, 0
	v_rcp_iflag_f32_e32 v1, v1
	v_lshlrev_b32_e32 v82, 3, v0
	v_mov_b32_e32 v83, v67
	v_mov_b32_e32 v21, v67
	v_mul_f32_e32 v1, 0x4f7ffffe, v1
	v_cvt_u32_f32_e32 v1, v1
	v_and_b32_e32 v64, 0x1fffff0, v64
	s_mov_b32 s25, 0
	v_mov_b32_e32 v65, v67
	v_mul_lo_u32 v2, v2, v1
	v_mul_hi_u32 v2, v1, v2
	v_add_u32_e32 v1, v1, v2
	v_mad_u64_u32 v[2:3], s[2:3], v1, -1, 0
	v_mul_lo_u32 v1, v3, v46
	v_not_b32_e32 v1, v1
	v_add_u32_e32 v2, 1, v3
	v_cmp_ge_u32_e32 vcc, v1, v46
	s_ashr_i32 s2, s4, 31
	s_lshr_b32 s2, s2, 29
	v_cndmask_b32_e32 v2, v3, v2, vcc
	v_sub_u32_e32 v3, v1, v46
	v_cndmask_b32_e32 v1, v1, v3, vcc
	v_add_u32_e32 v3, 1, v2
	v_cmp_ge_u32_e32 vcc, v1, v46
	s_add_i32 s4, s4, s2
	s_ashr_i32 s6, s4, 3
	v_cndmask_b32_e32 v30, v2, v3, vcc
	v_lshl_add_u64 v[2:3], v[18:19], 0, v[4:5]
	s_lshl_b64 s[2:3], s[18:19], 2
	s_ashr_i32 s90, s4, 7
	v_lshl_add_u64 v[68:69], v[2:3], 0, v[68:69]
	v_lshl_add_u64 v[2:3], v[22:23], 0, s[2:3]
	s_and_b32 s19, s6, -16
	v_and_b32_e32 v1, 63, v31
	v_lshl_add_u64 v[70:71], v[2:3], 0, -4
	v_cmp_eq_u32_e64 s[8:9], 0, v1
	s_cmp_gt_i32 s18, 2
	v_lshl_add_u64 v[2:3], v[24:25], 0, v[10:11]
	v_mov_b32_e32 v1, v67
	s_mov_b64 s[26:27], 0
	v_cmp_ne_u64_e64 s[2:3], 0, v[50:51]
	s_waitcnt vmcnt(0) lgkmcnt(0)
	v_cmp_ne_u64_e64 s[4:5], 0, v[12:13]
	v_cmp_ne_u32_e64 s[6:7], 64, v20
	v_cmp_ne_u32_sdwa s[28:29], v20, v44 src0_sel:DWORD src1_sel:WORD_0
	v_lshrrev_b32_e32 v80, 6, v20
	v_mov_b32_e32 v81, v67
	v_lshlrev_b32_e32 v84, 3, v20
	v_mov_b32_e32 v85, v67
	s_cselect_b64 s[40:41], -1, 0
	v_lshl_add_u64 v[86:87], v[10:11], 0, v[82:83]
	v_cmp_ne_u64_e64 s[10:11], 0, v[48:49]
	v_lshl_add_u64 v[8:9], v[8:9], 0, v[82:83]
	v_cmp_gt_i32_e64 s[12:13], 0, v45
	v_lshl_add_u64 v[96:97], v[2:3], 0, v[82:83]
	v_lshlrev_b32_e32 v47, 6, v20
	v_lshl_add_u64 v[98:99], v[0:1], 4, v[36:37]
	v_lshlrev_b64 v[100:101], 4, v[20:21]
	v_mov_b64_e32 v[102:103], 0
	s_mov_b64 s[42:43], 0x7ffffff8
	v_mov_b32_e32 v1, 1
	s_mov_b32 s91, 0x7020500
	s_mov_b32 s92, 0x6050400
	;; [unrolled: 1-line block ×5, first 2 shown]
	v_mov_b32_e32 v21, 0
	v_mov_b64_e32 v[54:55], 0
	s_branch .LBB2_24
.LBB2_23:                               ;   in Loop: Header=BB2_24 Depth=1
	s_or_b64 exec, exec, s[14:15]
	v_lshl_add_u64 v[102:103], v[102:103], 0, v[64:65]
	v_cmp_ge_u64_e32 vcc, v[102:103], v[6:7]
	v_lshl_add_u64 v[34:35], v[34:35], 0, 1
	s_or_b64 s[26:27], vcc, s[26:27]
	v_lshl_add_u64 v[96:97], v[96:97], 0, v[64:65]
	s_andn2_b64 exec, exec, s[26:27]
	s_cbranch_execz .LBB2_211
.LBB2_24:                               ; =>This Loop Header: Depth=1
                                        ;     Child Loop BB2_29 Depth 2
                                        ;     Child Loop BB2_48 Depth 2
	;; [unrolled: 1-line block ×5, first 2 shown]
                                        ;       Child Loop BB2_78 Depth 3
                                        ;       Child Loop BB2_97 Depth 3
	;; [unrolled: 1-line block ×3, first 2 shown]
                                        ;         Child Loop BB2_127 Depth 4
                                        ;       Child Loop BB2_141 Depth 3
                                        ;       Child Loop BB2_114 Depth 3
                                        ;     Child Loop BB2_157 Depth 2
                                        ;       Child Loop BB2_165 Depth 3
                                        ;     Child Loop BB2_199 Depth 2
	s_waitcnt vmcnt(0) lgkmcnt(0)
	flat_load_dword v4, v[70:71]
	v_sub_co_u32_e32 v2, vcc, v6, v102
	s_nop 1
	v_subb_co_u32_e32 v3, vcc, v7, v103, vcc
	v_cmp_lt_u64_e32 vcc, v[64:65], v[2:3]
	s_nop 1
	v_cndmask_b32_e32 v5, v2, v64, vcc
	v_lshl_add_u32 v2, v5, 1, 14
	v_and_b32_e32 v57, 0x7fffff0, v2
	s_and_saveexec_b64 s[16:17], s[2:3]
	s_cbranch_execz .LBB2_40
; %bb.25:                               ;   in Loop: Header=BB2_24 Depth=1
	v_lshl_add_u64 v[2:3], v[14:15], 0, 1
	v_lshl_add_u64 v[18:19], v[52:53], 0, 8
	v_cmp_lt_u64_e32 vcc, v[18:19], v[2:3]
	s_and_saveexec_b64 s[44:45], vcc
	s_cbranch_execz .LBB2_37
; %bb.26:                               ;   in Loop: Header=BB2_24 Depth=1
	s_mov_b32 s24, 0
	v_cmp_eq_u32_e32 vcc, 0, v21
	s_mov_b64 s[46:47], 0
                                        ; implicit-def: $sgpr56_sgpr57
                                        ; implicit-def: $sgpr58_sgpr59
                                        ; implicit-def: $sgpr60_sgpr61
	s_branch .LBB2_29
.LBB2_27:                               ;   in Loop: Header=BB2_29 Depth=2
	s_or_b64 exec, exec, s[78:79]
	s_andn2_b64 s[14:15], s[60:61], exec
	s_and_b64 s[60:61], s[74:75], exec
	s_or_b64 s[60:61], s[14:15], s[60:61]
	s_andn2_b64 s[14:15], s[58:59], exec
	s_and_b64 s[58:59], s[72:73], exec
	s_or_b64 s[58:59], s[14:15], s[58:59]
.LBB2_28:                               ;   in Loop: Header=BB2_29 Depth=2
	s_or_b64 exec, exec, s[62:63]
	s_and_b64 s[14:15], exec, s[58:59]
	s_or_b64 s[46:47], s[14:15], s[46:47]
	s_andn2_b64 s[14:15], s[56:57], exec
	s_and_b64 s[56:57], s[60:61], exec
	s_or_b64 s[56:57], s[14:15], s[56:57]
	s_andn2_b64 exec, exec, s[46:47]
	s_cbranch_execz .LBB2_34
.LBB2_29:                               ;   Parent Loop BB2_24 Depth=1
                                        ; =>  This Inner Loop Header: Depth=2
	s_sleep 1
	s_waitcnt vmcnt(0) lgkmcnt(0)
	flat_load_dwordx2 v[52:53], v[50:51] sc1
	v_mov_b32_e32 v21, 1
	s_or_b64 s[60:61], s[60:61], exec
	s_or_b64 s[58:59], s[58:59], exec
                                        ; implicit-def: $vgpr15
	s_and_saveexec_b64 s[62:63], vcc
	s_cbranch_execz .LBB2_28
; %bb.30:                               ;   in Loop: Header=BB2_29 Depth=2
	s_add_i32 s24, s24, 1
	s_cmpk_lg_i32 s24, 0x2710
	s_cselect_b64 s[76:77], -1, 0
	s_cmpk_eq_i32 s24, 0x2710
	s_mov_b64 s[72:73], -1
	s_mov_b64 s[74:75], -1
                                        ; implicit-def: $vgpr15
	s_cbranch_scc1 .LBB2_32
; %bb.31:                               ;   in Loop: Header=BB2_29 Depth=2
	v_mov_b32_e32 v21, 1
	s_and_saveexec_b64 s[78:79], s[76:77]
	s_cbranch_execz .LBB2_27
	s_branch .LBB2_33
.LBB2_32:                               ;   in Loop: Header=BB2_29 Depth=2
	s_trap 2
	ds_read_b64 v[18:19], v0
	s_andn2_b64 s[76:77], s[76:77], exec
	s_mov_b32 s24, 0
	s_mov_b64 s[74:75], 0
	s_waitcnt vmcnt(0) lgkmcnt(0)
	flat_load_dword v15, v[18:19] sc0 sc1
	s_waitcnt vmcnt(0) lgkmcnt(0)
	buffer_inv sc0 sc1
	v_cmp_eq_u32_e64 s[14:15], 0, v15
	s_and_b64 s[14:15], s[14:15], exec
	s_or_b64 s[76:77], s[76:77], s[14:15]
	v_mov_b32_e32 v21, 1
	s_and_saveexec_b64 s[78:79], s[76:77]
	s_cbranch_execz .LBB2_27
.LBB2_33:                               ;   in Loop: Header=BB2_29 Depth=2
	s_waitcnt vmcnt(0) lgkmcnt(0)
	v_lshl_add_u64 v[18:19], v[52:53], 0, 8
	v_cmp_ge_u64_e64 s[14:15], v[18:19], v[2:3]
	v_mov_b32_e32 v21, 0
	s_or_b64 s[74:75], s[74:75], exec
	s_orn2_b64 s[72:73], s[14:15], exec
	s_branch .LBB2_27
.LBB2_34:                               ;   in Loop: Header=BB2_24 Depth=1
	s_or_b64 exec, exec, s[46:47]
	s_xor_b64 s[14:15], s[56:57], -1
	s_and_saveexec_b64 s[46:47], s[14:15]
	s_xor_b64 s[14:15], exec, s[46:47]
	s_cbranch_execz .LBB2_36
; %bb.35:                               ;   in Loop: Header=BB2_24 Depth=1
	v_mov_b32_e32 v21, 1
	s_waitcnt lgkmcnt(0)
	ds_write_b32 v0, v15
	s_trap 2
.LBB2_36:                               ;   in Loop: Header=BB2_24 Depth=1
	s_or_b64 exec, exec, s[14:15]
.LBB2_37:                               ;   in Loop: Header=BB2_24 Depth=1
	s_or_b64 exec, exec, s[44:45]
	s_and_saveexec_b64 s[14:15], s[4:5]
	s_cbranch_execz .LBB2_39
; %bb.38:                               ;   in Loop: Header=BB2_24 Depth=1
	v_and_b32_e32 v66, 0x7ffffff8, v14
	v_mov_b32_e32 v15, s19
	v_cmp_eq_u64_e32 vcc, s[42:43], v[66:67]
	v_and_b32_e32 v14, 7, v14
	s_nop 0
	v_cndmask_b32_e32 v18, v57, v15, vcc
	v_ashrrev_i32_e32 v19, 31, v18
	v_mad_u64_u32 v[14:15], s[44:45], v14, 24, v[12:13]
	flat_store_dwordx2 v[14:15], v[18:19] offset:8 sc0 sc1
	s_waitcnt vmcnt(0)
.LBB2_39:                               ;   in Loop: Header=BB2_24 Depth=1
	s_or_b64 exec, exec, s[14:15]
	v_mov_b64_e32 v[14:15], v[2:3]
.LBB2_40:                               ;   in Loop: Header=BB2_24 Depth=1
	s_or_b64 exec, exec, s[16:17]
	s_and_saveexec_b64 s[14:15], s[6:7]
	s_cbranch_execz .LBB2_59
; %bb.41:                               ;   in Loop: Header=BB2_24 Depth=1
	s_and_saveexec_b64 s[16:17], s[28:29]
	s_xor_b64 s[16:17], exec, s[16:17]
	s_cbranch_execz .LBB2_56
; %bb.42:                               ;   in Loop: Header=BB2_24 Depth=1
	s_and_saveexec_b64 s[44:45], s[8:9]
	s_cbranch_execz .LBB2_55
; %bb.43:                               ;   in Loop: Header=BB2_24 Depth=1
	s_mov_b64 s[56:57], exec
	v_mbcnt_lo_u32_b32 v2, s56, 0
	v_mbcnt_hi_u32_b32 v2, s57, v2
	v_cmp_eq_u32_e32 vcc, 0, v2
	buffer_wbl2 sc1
	s_waitcnt vmcnt(0) lgkmcnt(0)
	buffer_inv sc1
	s_and_saveexec_b64 s[46:47], vcc
	s_cbranch_execz .LBB2_45
; %bb.44:                               ;   in Loop: Header=BB2_24 Depth=1
	s_bcnt1_i32_b64 s24, s[56:57]
	v_mov_b32_e32 v66, s24
	ds_add_u64 v0, v[66:67]
	s_trap 2
.LBB2_45:                               ;   in Loop: Header=BB2_24 Depth=1
	s_or_b64 exec, exec, s[46:47]
	s_trap 2
	ds_read_b64 v[2:3], v0
	s_waitcnt lgkmcnt(0)
	v_lshl_add_u64 v[54:55], v[54:55], 0, v[80:81]
	v_cmp_lt_u64_e32 vcc, v[2:3], v[54:55]
	s_and_saveexec_b64 s[46:47], vcc
	s_cbranch_execz .LBB2_54
; %bb.46:                               ;   in Loop: Header=BB2_24 Depth=1
	s_mov_b32 s24, 0
	s_mov_b64 s[56:57], 0
                                        ; implicit-def: $sgpr58_sgpr59
                                        ; implicit-def: $sgpr60_sgpr61
	s_branch .LBB2_48
.LBB2_47:                               ;   in Loop: Header=BB2_48 Depth=2
	s_or_b64 exec, exec, s[72:73]
	s_and_b64 s[62:63], exec, s[74:75]
	s_or_b64 s[56:57], s[62:63], s[56:57]
	s_andn2_b64 s[58:59], s[58:59], exec
	s_and_b64 s[62:63], s[60:61], exec
	s_or_b64 s[58:59], s[58:59], s[62:63]
	s_andn2_b64 exec, exec, s[56:57]
	s_cbranch_execz .LBB2_52
.LBB2_48:                               ;   Parent Loop BB2_24 Depth=1
                                        ; =>  This Inner Loop Header: Depth=2
	s_add_i32 s24, s24, 1
	s_cmpk_lg_i32 s24, 0x2710
	s_cselect_b64 s[62:63], -1, 0
	s_and_b64 vcc, exec, s[62:63]
	s_cbranch_vccz .LBB2_50
; %bb.49:                               ;   in Loop: Header=BB2_48 Depth=2
	s_mov_b64 s[74:75], -1
	s_or_b64 s[60:61], s[60:61], exec
	s_and_saveexec_b64 s[72:73], s[62:63]
	s_cbranch_execz .LBB2_47
	s_branch .LBB2_51
.LBB2_50:                               ;   in Loop: Header=BB2_48 Depth=2
	s_trap 2
	ds_read_b64 v[2:3], v0
	s_andn2_b64 s[62:63], s[62:63], exec
	s_mov_b32 s24, 0
	s_waitcnt lgkmcnt(0)
	flat_load_dword v2, v[2:3] sc0 sc1
	s_waitcnt vmcnt(0) lgkmcnt(0)
	buffer_inv sc0 sc1
	v_cmp_eq_u32_e32 vcc, 0, v2
	s_and_b64 s[72:73], vcc, exec
	s_or_b64 s[62:63], s[62:63], s[72:73]
	s_mov_b64 s[74:75], -1
	s_or_b64 s[60:61], s[60:61], exec
	s_and_saveexec_b64 s[72:73], s[62:63]
	s_cbranch_execz .LBB2_47
.LBB2_51:                               ;   in Loop: Header=BB2_48 Depth=2
	s_sleep 1
	s_trap 2
	ds_read_b64 v[2:3], v0
	s_waitcnt lgkmcnt(0)
	s_andn2_b64 s[60:61], s[60:61], exec
	v_cmp_ge_u64_e32 vcc, v[2:3], v[54:55]
	s_orn2_b64 s[74:75], vcc, exec
	s_branch .LBB2_47
.LBB2_52:                               ;   in Loop: Header=BB2_24 Depth=1
	s_or_b64 exec, exec, s[56:57]
	s_and_saveexec_b64 s[56:57], s[58:59]
	s_xor_b64 s[56:57], exec, s[56:57]
	s_cbranch_execz .LBB2_54
; %bb.53:                               ;   in Loop: Header=BB2_24 Depth=1
	ds_write_b32 v0, v1
	s_trap 2
.LBB2_54:                               ;   in Loop: Header=BB2_24 Depth=1
	s_or_b64 exec, exec, s[46:47]
	;;#ASMSTART
	s_wakeup
	;;#ASMEND
.LBB2_55:                               ;   in Loop: Header=BB2_24 Depth=1
	s_or_b64 exec, exec, s[44:45]
.LBB2_56:                               ;   in Loop: Header=BB2_24 Depth=1
	s_andn2_saveexec_b64 s[16:17], s[16:17]
	s_cbranch_execz .LBB2_58
; %bb.57:                               ;   in Loop: Header=BB2_24 Depth=1
	buffer_wbl2 sc1
	s_waitcnt vmcnt(0) lgkmcnt(0)
	buffer_inv sc1
	s_barrier
.LBB2_58:                               ;   in Loop: Header=BB2_24 Depth=1
	s_or_b64 exec, exec, s[16:17]
.LBB2_59:                               ;   in Loop: Header=BB2_24 Depth=1
	s_or_b64 exec, exec, s[14:15]
	v_sub_u32_e32 v56, v5, v82
	v_cmp_lt_i32_e64 s[14:15], 0, v56
	v_and_b32_e32 v19, 7, v16
	v_add_u32_e32 v3, 1, v16
	v_mov_b32_e32 v18, v0
	s_and_saveexec_b64 s[16:17], s[14:15]
	s_cbranch_execz .LBB2_67
; %bb.60:                               ;   in Loop: Header=BB2_24 Depth=1
	s_waitcnt vmcnt(0) lgkmcnt(0)
	v_ashrrev_i32_e32 v2, 31, v4
	v_mul_lo_u32 v114, v19, s90
	v_mad_u64_u32 v[112:113], s[44:45], v68, v4, v[96:97]
	v_mul_lo_u32 v5, v69, v4
	v_mul_lo_u32 v2, v68, v2
	v_ashrrev_i32_e32 v115, 31, v114
	v_add3_u32 v113, v5, v113, v2
	v_mul_lo_u32 v2, v68, v4
	v_add_lshl_u32 v116, v96, v2, 3
	v_lshl_add_u64 v[114:115], v[114:115], 4, v[98:99]
	s_mov_b64 s[44:45], 0
	v_mov_b32_e32 v117, v56
	v_mov_b32_e32 v18, v0
	s_branch .LBB2_62
.LBB2_61:                               ;   in Loop: Header=BB2_62 Depth=2
	s_or_b64 exec, exec, s[46:47]
	v_sub_u32_e32 v117, v117, v84
	s_waitcnt vmcnt(0)
	v_alignbit_b32 v2, v119, v2, v116
	v_alignbit_b32 v4, v118, v119, v116
	v_mov_b32_e32 v5, v3
	v_cmp_gt_i32_e32 vcc, 1, v117
	global_store_dwordx4 v[114:115], v[2:5], off
	v_add_u32_e32 v18, v18, v20
	v_lshl_add_u64 v[112:113], v[112:113], 0, v[84:85]
	v_add_u32_e32 v116, v116, v47
	s_or_b64 s[44:45], vcc, s[44:45]
	v_lshl_add_u64 v[114:115], v[114:115], 0, v[100:101]
	buffer_wbl2 sc0 sc1
	s_waitcnt vmcnt(0)
	s_andn2_b64 exec, exec, s[44:45]
	s_cbranch_execz .LBB2_66
.LBB2_62:                               ;   Parent Loop BB2_24 Depth=1
                                        ; =>  This Inner Loop Header: Depth=2
	v_and_b32_e32 v4, -4, v112
	v_mov_b32_e32 v5, v113
	global_load_dword v2, v[4:5], off nt
	v_min_u32_e32 v66, 8, v117
	v_and_b32_e32 v118, 3, v112
	v_add_u32_e32 v66, v118, v66
	v_cmp_lt_u32_e32 vcc, 4, v66
	v_mov_b32_e32 v118, 0
	v_mov_b32_e32 v119, 0
	s_and_saveexec_b64 s[46:47], vcc
	s_cbranch_execz .LBB2_64
; %bb.63:                               ;   in Loop: Header=BB2_62 Depth=2
	global_load_dword v119, v[4:5], off offset:4 nt
.LBB2_64:                               ;   in Loop: Header=BB2_62 Depth=2
	s_or_b64 exec, exec, s[46:47]
	v_cmp_lt_u64_e32 vcc, 8, v[66:67]
	s_and_saveexec_b64 s[46:47], vcc
	s_cbranch_execz .LBB2_61
; %bb.65:                               ;   in Loop: Header=BB2_62 Depth=2
	global_load_dword v118, v[4:5], off offset:8 nt
	s_branch .LBB2_61
.LBB2_66:                               ;   in Loop: Header=BB2_24 Depth=1
	s_or_b64 exec, exec, s[44:45]
.LBB2_67:                               ;   in Loop: Header=BB2_24 Depth=1
	s_or_b64 exec, exec, s[16:17]
	v_and_b32_e32 v66, 0x7ffffff8, v16
	v_cmp_eq_u64_e32 vcc, s[42:43], v[66:67]
	v_cmp_gt_i32_e64 s[16:17], s90, v18
	s_and_b64 s[44:45], vcc, s[16:17]
	s_and_saveexec_b64 s[16:17], s[44:45]
	s_cbranch_execz .LBB2_70
; %bb.68:                               ;   in Loop: Header=BB2_24 Depth=1
	s_waitcnt vmcnt(0) lgkmcnt(0)
	v_mul_lo_u32 v4, v19, s90
	v_ashrrev_i32_e32 v5, 31, v4
	v_ashrrev_i32_e32 v19, 31, v18
	v_lshlrev_b64 v[4:5], 4, v[4:5]
	v_lshl_add_u64 v[4:5], v[18:19], 4, v[4:5]
	v_mov_b32_e32 v2, v67
	v_lshl_add_u64 v[112:113], v[36:37], 0, v[4:5]
	s_mov_b64 s[44:45], 0
.LBB2_69:                               ;   Parent Loop BB2_24 Depth=1
                                        ; =>  This Inner Loop Header: Depth=2
	v_add_u32_e32 v18, v18, v20
	v_mov_b32_e32 v4, v2
	v_mov_b32_e32 v5, v3
	v_cmp_le_i32_e32 vcc, s90, v18
	global_store_dwordx4 v[112:113], v[2:5], off
	s_or_b64 s[44:45], vcc, s[44:45]
	v_lshl_add_u64 v[112:113], v[112:113], 0, v[100:101]
	buffer_wbl2 sc0 sc1
	s_waitcnt vmcnt(0)
	s_andn2_b64 exec, exec, s[44:45]
	s_cbranch_execnz .LBB2_69
.LBB2_70:                               ;   in Loop: Header=BB2_24 Depth=1
	s_or_b64 exec, exec, s[16:17]
	v_lshl_add_u64 v[112:113], v[102:103], 0, v[24:25]
	s_andn2_b64 vcc, exec, s[40:41]
	v_lshl_add_u64 v[114:115], v[16:17], 0, 1
	s_cbranch_vccnz .LBB2_152
; %bb.71:                               ;   in Loop: Header=BB2_24 Depth=1
	v_lshl_add_u64 v[116:117], v[86:87], 0, v[112:113]
	v_add_u16_e32 v58, 1, v16
	s_mov_b32 s30, 2
	s_branch .LBB2_73
.LBB2_72:                               ;   in Loop: Header=BB2_73 Depth=2
	s_or_b64 exec, exec, s[16:17]
	s_add_i32 s30, s30, 1
	v_lshl_add_u64 v[34:35], v[34:35], 0, 1
	v_lshl_add_u64 v[114:115], v[114:115], 0, 1
	s_cmp_eq_u32 s30, s18
	v_add_u16_e32 v58, 1, v58
	s_cbranch_scc1 .LBB2_152
.LBB2_73:                               ;   Parent Loop BB2_24 Depth=1
                                        ; =>  This Loop Header: Depth=2
                                        ;       Child Loop BB2_78 Depth 3
                                        ;       Child Loop BB2_97 Depth 3
	;; [unrolled: 1-line block ×3, first 2 shown]
                                        ;         Child Loop BB2_127 Depth 4
                                        ;       Child Loop BB2_141 Depth 3
                                        ;       Child Loop BB2_114 Depth 3
	s_sub_i32 s24, s18, s30
	s_lshl_b64 s[16:17], s[24:25], 2
	v_lshl_add_u64 v[2:3], v[22:23], 0, s[16:17]
	flat_load_dword v16, v[2:3]
	s_and_saveexec_b64 s[44:45], s[2:3]
	s_cbranch_execz .LBB2_89
; %bb.74:                               ;   in Loop: Header=BB2_73 Depth=2
	v_lshl_add_u64 v[2:3], v[14:15], 0, 1
	s_waitcnt vmcnt(0) lgkmcnt(0)
	v_lshl_add_u64 v[4:5], v[52:53], 0, 8
	v_cmp_lt_u64_e32 vcc, v[4:5], v[2:3]
	s_and_saveexec_b64 s[46:47], vcc
	s_cbranch_execz .LBB2_86
; %bb.75:                               ;   in Loop: Header=BB2_73 Depth=2
	s_mov_b32 s24, 0
	v_cmp_eq_u32_e32 vcc, 0, v21
	s_mov_b64 s[56:57], 0
                                        ; implicit-def: $sgpr58_sgpr59
                                        ; implicit-def: $sgpr60_sgpr61
                                        ; implicit-def: $sgpr62_sgpr63
	s_branch .LBB2_78
.LBB2_76:                               ;   in Loop: Header=BB2_78 Depth=3
	s_or_b64 exec, exec, s[88:89]
	s_andn2_b64 s[16:17], s[62:63], exec
	s_and_b64 s[62:63], s[76:77], exec
	s_or_b64 s[62:63], s[16:17], s[62:63]
	s_andn2_b64 s[16:17], s[60:61], exec
	s_and_b64 s[60:61], s[74:75], exec
	s_or_b64 s[60:61], s[16:17], s[60:61]
.LBB2_77:                               ;   in Loop: Header=BB2_78 Depth=3
	s_or_b64 exec, exec, s[72:73]
	s_and_b64 s[16:17], exec, s[60:61]
	s_or_b64 s[56:57], s[16:17], s[56:57]
	s_andn2_b64 s[16:17], s[58:59], exec
	s_and_b64 s[58:59], s[62:63], exec
	s_or_b64 s[58:59], s[16:17], s[58:59]
	s_andn2_b64 exec, exec, s[56:57]
	s_cbranch_execz .LBB2_83
.LBB2_78:                               ;   Parent Loop BB2_24 Depth=1
                                        ;     Parent Loop BB2_73 Depth=2
                                        ; =>    This Inner Loop Header: Depth=3
	s_sleep 1
	s_waitcnt vmcnt(0) lgkmcnt(0)
	flat_load_dwordx2 v[52:53], v[50:51] sc1
	v_mov_b32_e32 v21, 1
	s_or_b64 s[62:63], s[62:63], exec
	s_or_b64 s[60:61], s[60:61], exec
                                        ; implicit-def: $vgpr4
	s_and_saveexec_b64 s[72:73], vcc
	s_cbranch_execz .LBB2_77
; %bb.79:                               ;   in Loop: Header=BB2_78 Depth=3
	s_add_i32 s24, s24, 1
	s_cmpk_lg_i32 s24, 0x2710
	s_cselect_b64 s[78:79], -1, 0
	s_cmpk_eq_i32 s24, 0x2710
	s_mov_b64 s[74:75], -1
	s_mov_b64 s[76:77], -1
                                        ; implicit-def: $vgpr4
	s_cbranch_scc1 .LBB2_81
; %bb.80:                               ;   in Loop: Header=BB2_78 Depth=3
	v_mov_b32_e32 v21, 1
	s_and_saveexec_b64 s[88:89], s[78:79]
	s_cbranch_execz .LBB2_76
	s_branch .LBB2_82
.LBB2_81:                               ;   in Loop: Header=BB2_78 Depth=3
	s_trap 2
	ds_read_b64 v[4:5], v0
	s_andn2_b64 s[78:79], s[78:79], exec
	s_mov_b32 s24, 0
	s_mov_b64 s[76:77], 0
	s_waitcnt vmcnt(0) lgkmcnt(0)
	flat_load_dword v4, v[4:5] sc0 sc1
	s_waitcnt vmcnt(0) lgkmcnt(0)
	buffer_inv sc0 sc1
	v_cmp_eq_u32_e64 s[16:17], 0, v4
	s_and_b64 s[16:17], s[16:17], exec
	s_or_b64 s[78:79], s[78:79], s[16:17]
	v_mov_b32_e32 v21, 1
	s_and_saveexec_b64 s[88:89], s[78:79]
	s_cbranch_execz .LBB2_76
.LBB2_82:                               ;   in Loop: Header=BB2_78 Depth=3
	s_waitcnt vmcnt(0) lgkmcnt(0)
	v_lshl_add_u64 v[18:19], v[52:53], 0, 8
	v_cmp_ge_u64_e64 s[16:17], v[18:19], v[2:3]
	v_mov_b32_e32 v21, 0
	s_or_b64 s[76:77], s[76:77], exec
	s_orn2_b64 s[74:75], s[16:17], exec
	s_branch .LBB2_76
.LBB2_83:                               ;   in Loop: Header=BB2_73 Depth=2
	s_or_b64 exec, exec, s[56:57]
	s_xor_b64 s[16:17], s[58:59], -1
	s_and_saveexec_b64 s[56:57], s[16:17]
	s_xor_b64 s[16:17], exec, s[56:57]
	s_cbranch_execz .LBB2_85
; %bb.84:                               ;   in Loop: Header=BB2_73 Depth=2
	v_mov_b32_e32 v21, 1
	s_waitcnt lgkmcnt(0)
	ds_write_b32 v0, v4
	s_trap 2
.LBB2_85:                               ;   in Loop: Header=BB2_73 Depth=2
	s_or_b64 exec, exec, s[16:17]
.LBB2_86:                               ;   in Loop: Header=BB2_73 Depth=2
	s_or_b64 exec, exec, s[46:47]
	s_and_saveexec_b64 s[16:17], s[4:5]
	s_cbranch_execz .LBB2_88
; %bb.87:                               ;   in Loop: Header=BB2_73 Depth=2
	v_and_b32_e32 v66, 0x7ffffff8, v14
	v_mov_b32_e32 v4, s19
	v_cmp_eq_u64_e32 vcc, s[42:43], v[66:67]
	v_and_b32_e32 v14, 7, v14
	v_mad_u64_u32 v[14:15], s[46:47], v14, 24, v[12:13]
	v_cndmask_b32_e32 v4, v57, v4, vcc
	v_ashrrev_i32_e32 v5, 31, v4
	flat_store_dwordx2 v[14:15], v[4:5] offset:8 sc0 sc1
	s_waitcnt vmcnt(0)
.LBB2_88:                               ;   in Loop: Header=BB2_73 Depth=2
	s_or_b64 exec, exec, s[16:17]
	v_mov_b64_e32 v[14:15], v[2:3]
.LBB2_89:                               ;   in Loop: Header=BB2_73 Depth=2
	s_or_b64 exec, exec, s[44:45]
	s_and_saveexec_b64 s[16:17], s[6:7]
	s_cbranch_execz .LBB2_108
; %bb.90:                               ;   in Loop: Header=BB2_73 Depth=2
	s_and_saveexec_b64 s[44:45], s[28:29]
	s_xor_b64 s[44:45], exec, s[44:45]
	s_cbranch_execz .LBB2_105
; %bb.91:                               ;   in Loop: Header=BB2_73 Depth=2
	s_and_saveexec_b64 s[46:47], s[8:9]
	s_cbranch_execz .LBB2_104
; %bb.92:                               ;   in Loop: Header=BB2_73 Depth=2
	s_mov_b64 s[58:59], exec
	v_mbcnt_lo_u32_b32 v2, s58, 0
	v_mbcnt_hi_u32_b32 v2, s59, v2
	v_cmp_eq_u32_e32 vcc, 0, v2
	buffer_wbl2 sc1
	s_waitcnt vmcnt(0) lgkmcnt(0)
	buffer_inv sc1
	s_and_saveexec_b64 s[56:57], vcc
	s_cbranch_execz .LBB2_94
; %bb.93:                               ;   in Loop: Header=BB2_73 Depth=2
	s_bcnt1_i32_b64 s24, s[58:59]
	v_mov_b32_e32 v66, s24
	ds_add_u64 v0, v[66:67]
	s_trap 2
.LBB2_94:                               ;   in Loop: Header=BB2_73 Depth=2
	s_or_b64 exec, exec, s[56:57]
	s_trap 2
	ds_read_b64 v[2:3], v0
	s_waitcnt lgkmcnt(0)
	v_lshl_add_u64 v[54:55], v[54:55], 0, v[80:81]
	v_cmp_lt_u64_e32 vcc, v[2:3], v[54:55]
	s_and_saveexec_b64 s[56:57], vcc
	s_cbranch_execz .LBB2_103
; %bb.95:                               ;   in Loop: Header=BB2_73 Depth=2
	s_mov_b32 s24, 0
	s_mov_b64 s[58:59], 0
                                        ; implicit-def: $sgpr60_sgpr61
                                        ; implicit-def: $sgpr62_sgpr63
	s_branch .LBB2_97
.LBB2_96:                               ;   in Loop: Header=BB2_97 Depth=3
	s_or_b64 exec, exec, s[74:75]
	s_and_b64 s[72:73], exec, s[76:77]
	s_or_b64 s[58:59], s[72:73], s[58:59]
	s_andn2_b64 s[60:61], s[60:61], exec
	s_and_b64 s[72:73], s[62:63], exec
	s_or_b64 s[60:61], s[60:61], s[72:73]
	s_andn2_b64 exec, exec, s[58:59]
	s_cbranch_execz .LBB2_101
.LBB2_97:                               ;   Parent Loop BB2_24 Depth=1
                                        ;     Parent Loop BB2_73 Depth=2
                                        ; =>    This Inner Loop Header: Depth=3
	s_add_i32 s24, s24, 1
	s_cmpk_lg_i32 s24, 0x2710
	s_cselect_b64 s[72:73], -1, 0
	s_and_b64 vcc, exec, s[72:73]
	s_cbranch_vccz .LBB2_99
; %bb.98:                               ;   in Loop: Header=BB2_97 Depth=3
	s_mov_b64 s[76:77], -1
	s_or_b64 s[62:63], s[62:63], exec
	s_and_saveexec_b64 s[74:75], s[72:73]
	s_cbranch_execz .LBB2_96
	s_branch .LBB2_100
.LBB2_99:                               ;   in Loop: Header=BB2_97 Depth=3
	s_trap 2
	ds_read_b64 v[2:3], v0
	s_andn2_b64 s[72:73], s[72:73], exec
	s_mov_b32 s24, 0
	s_waitcnt lgkmcnt(0)
	flat_load_dword v2, v[2:3] sc0 sc1
	s_waitcnt vmcnt(0) lgkmcnt(0)
	buffer_inv sc0 sc1
	v_cmp_eq_u32_e32 vcc, 0, v2
	s_and_b64 s[74:75], vcc, exec
	s_or_b64 s[72:73], s[72:73], s[74:75]
	s_mov_b64 s[76:77], -1
	s_or_b64 s[62:63], s[62:63], exec
	s_and_saveexec_b64 s[74:75], s[72:73]
	s_cbranch_execz .LBB2_96
.LBB2_100:                              ;   in Loop: Header=BB2_97 Depth=3
	s_sleep 1
	s_trap 2
	ds_read_b64 v[2:3], v0
	s_waitcnt lgkmcnt(0)
	s_andn2_b64 s[62:63], s[62:63], exec
	v_cmp_ge_u64_e32 vcc, v[2:3], v[54:55]
	s_orn2_b64 s[76:77], vcc, exec
	s_branch .LBB2_96
.LBB2_101:                              ;   in Loop: Header=BB2_73 Depth=2
	s_or_b64 exec, exec, s[58:59]
	s_and_saveexec_b64 s[58:59], s[60:61]
	s_xor_b64 s[58:59], exec, s[58:59]
	s_cbranch_execz .LBB2_103
; %bb.102:                              ;   in Loop: Header=BB2_73 Depth=2
	ds_write_b32 v0, v1
	s_trap 2
.LBB2_103:                              ;   in Loop: Header=BB2_73 Depth=2
	s_or_b64 exec, exec, s[56:57]
	;;#ASMSTART
	s_wakeup
	;;#ASMEND
.LBB2_104:                              ;   in Loop: Header=BB2_73 Depth=2
	s_or_b64 exec, exec, s[46:47]
.LBB2_105:                              ;   in Loop: Header=BB2_73 Depth=2
	s_andn2_saveexec_b64 s[44:45], s[44:45]
	s_cbranch_execz .LBB2_107
; %bb.106:                              ;   in Loop: Header=BB2_73 Depth=2
	buffer_wbl2 sc1
	s_waitcnt vmcnt(0) lgkmcnt(0)
	buffer_inv sc1
	s_barrier
.LBB2_107:                              ;   in Loop: Header=BB2_73 Depth=2
	s_or_b64 exec, exec, s[44:45]
.LBB2_108:                              ;   in Loop: Header=BB2_73 Depth=2
	s_or_b64 exec, exec, s[16:17]
	v_add_u32_e32 v3, 1, v114
	v_mov_b32_e32 v66, v0
	s_and_saveexec_b64 s[44:45], s[14:15]
	s_cbranch_execnz .LBB2_115
; %bb.109:                              ;   in Loop: Header=BB2_73 Depth=2
	s_or_b64 exec, exec, s[44:45]
	s_and_saveexec_b64 s[16:17], s[6:7]
	s_cbranch_execnz .LBB2_134
.LBB2_110:                              ;   in Loop: Header=BB2_73 Depth=2
	s_or_b64 exec, exec, s[16:17]
	s_and_saveexec_b64 s[16:17], s[10:11]
	s_cbranch_execz .LBB2_112
.LBB2_111:                              ;   in Loop: Header=BB2_73 Depth=2
	v_lshl_add_u64 v[38:39], v[38:39], 0, 1
	flat_store_dwordx2 v[48:49], v[38:39] sc0 sc1
.LBB2_112:                              ;   in Loop: Header=BB2_73 Depth=2
	s_or_b64 exec, exec, s[16:17]
	s_waitcnt vmcnt(0) lgkmcnt(0)
	v_and_b32_e32 v4, 0x7ffffff8, v114
	v_mov_b32_e32 v5, v67
	v_cmp_eq_u64_e32 vcc, s[42:43], v[4:5]
	v_cmp_gt_i32_e64 s[16:17], s90, v66
	s_and_b64 s[44:45], vcc, s[16:17]
	s_and_saveexec_b64 s[16:17], s[44:45]
	s_cbranch_execz .LBB2_72
; %bb.113:                              ;   in Loop: Header=BB2_73 Depth=2
	v_and_b32_e32 v2, 7, v58
	v_mul_lo_u32 v4, s90, v2
	v_ashrrev_i32_e32 v5, 31, v4
	v_lshlrev_b64 v[4:5], 4, v[4:5]
	v_ashrrev_i32_e32 v17, 31, v66
	v_mov_b32_e32 v16, v66
	v_lshl_add_u64 v[4:5], v[16:17], 4, v[4:5]
	v_mov_b32_e32 v2, v67
	v_lshl_add_u64 v[16:17], v[36:37], 0, v[4:5]
	s_mov_b64 s[44:45], 0
.LBB2_114:                              ;   Parent Loop BB2_24 Depth=1
                                        ;     Parent Loop BB2_73 Depth=2
                                        ; =>    This Inner Loop Header: Depth=3
	v_add_u32_e32 v66, v66, v20
	v_mov_b32_e32 v4, v2
	v_mov_b32_e32 v5, v3
	v_cmp_le_i32_e32 vcc, s90, v66
	global_store_dwordx4 v[16:17], v[2:5], off
	s_or_b64 s[44:45], vcc, s[44:45]
	v_lshl_add_u64 v[16:17], v[16:17], 0, v[100:101]
	buffer_wbl2 sc0 sc1
	s_waitcnt vmcnt(0)
	s_andn2_b64 exec, exec, s[44:45]
	s_cbranch_execnz .LBB2_114
	s_branch .LBB2_72
.LBB2_115:                              ;   in Loop: Header=BB2_73 Depth=2
	s_waitcnt vmcnt(0) lgkmcnt(0)
	v_ashrrev_i32_e32 v2, 31, v16
	v_mad_u64_u32 v[4:5], s[16:17], v68, v16, v[116:117]
	v_mul_lo_u32 v16, v69, v16
	v_mul_lo_u32 v2, v68, v2
	v_add3_u32 v5, v16, v5, v2
	v_and_b32_e32 v2, 7, v34
	v_mul_lo_u32 v16, v2, s90
	v_ashrrev_i32_e32 v17, 31, v16
	v_and_b32_e32 v2, 7, v114
	v_lshl_add_u64 v[118:119], v[16:17], 4, v[32:33]
	v_mul_lo_u32 v16, v2, s90
	v_ashrrev_i32_e32 v17, 31, v16
	v_add_u32_e32 v59, 1, v34
	v_lshl_add_u64 v[40:41], v[16:17], 4, v[36:37]
	s_mov_b64 s[46:47], 0
	v_mov_b32_e32 v60, v56
	v_mov_b32_e32 v66, v0
	s_branch .LBB2_119
.LBB2_116:                              ;   in Loop: Header=BB2_119 Depth=3
	s_or_b64 exec, exec, s[16:17]
.LBB2_117:                              ;   in Loop: Header=BB2_119 Depth=3
	s_or_b64 exec, exec, s[58:59]
.LBB2_118:                              ;   in Loop: Header=BB2_119 Depth=3
	s_or_b64 exec, exec, s[56:57]
	v_lshl_add_u64 v[42:43], v[4:5], 0, v[84:85]
	v_lshlrev_b32_e32 v4, 3, v4
	s_waitcnt vmcnt(1)
	v_alignbit_b32 v2, v62, v2, v4
	v_alignbit_b32 v4, v61, v62, v4
	s_waitcnt vmcnt(0)
	v_and_b32_e32 v5, 0xff00ff, v16
	v_and_b32_e32 v17, 0xff00ff, v2
	;; [unrolled: 1-line block ×4, first 2 shown]
	v_add_u32_e32 v5, v5, v17
	v_add_u32_e32 v2, v16, v2
	v_and_b32_e32 v16, 0xff00ff, v18
	v_and_b32_e32 v17, 0xff00ff, v4
	v_add_u32_e32 v19, v16, v17
	v_and_b32_e32 v16, 0xff00ff00, v18
	v_and_b32_e32 v4, 0xff00ff00, v4
	v_add_u32_e32 v4, v16, v4
	v_sub_u32_e32 v60, v60, v84
	v_lshl_add_u64 v[16:17], v[66:67], 4, v[40:41]
	v_perm_b32 v2, v2, v5, s91
	v_perm_b32 v4, v4, v19, s91
	v_mov_b32_e32 v5, v3
	v_cmp_gt_i32_e32 vcc, 1, v60
	global_store_dwordx4 v[16:17], v[2:5], off
	v_add_u32_e32 v66, v66, v20
	s_or_b64 s[46:47], vcc, s[46:47]
	v_mov_b64_e32 v[4:5], v[42:43]
	buffer_wbl2 sc0 sc1
	s_waitcnt vmcnt(0) lgkmcnt(0)
	s_andn2_b64 exec, exec, s[46:47]
	s_cbranch_execz .LBB2_133
.LBB2_119:                              ;   Parent Loop BB2_24 Depth=1
                                        ;     Parent Loop BB2_73 Depth=2
                                        ; =>    This Loop Header: Depth=3
                                        ;         Child Loop BB2_127 Depth 4
	v_and_b32_e32 v16, -4, v4
	v_mov_b32_e32 v17, v5
	global_load_dword v2, v[16:17], off nt
	v_min_u32_e32 v18, 8, v60
	v_and_b32_e32 v19, 3, v4
	v_add_u32_e32 v18, v19, v18
	v_cmp_lt_u32_e32 vcc, 4, v18
	v_mov_b32_e32 v61, 0
	v_mov_b32_e32 v62, 0
	s_and_saveexec_b64 s[16:17], vcc
	s_cbranch_execz .LBB2_121
; %bb.120:                              ;   in Loop: Header=BB2_119 Depth=3
	global_load_dword v62, v[16:17], off offset:4 nt
.LBB2_121:                              ;   in Loop: Header=BB2_119 Depth=3
	s_or_b64 exec, exec, s[16:17]
	v_mov_b32_e32 v19, v67
	v_cmp_lt_u64_e32 vcc, 8, v[18:19]
	s_and_saveexec_b64 s[16:17], vcc
	s_cbranch_execz .LBB2_123
; %bb.122:                              ;   in Loop: Header=BB2_119 Depth=3
	global_load_dword v61, v[16:17], off offset:8 nt
.LBB2_123:                              ;   in Loop: Header=BB2_119 Depth=3
	s_or_b64 exec, exec, s[16:17]
	v_lshl_add_u64 v[42:43], v[66:67], 4, v[118:119]
	global_load_dwordx4 v[16:19], v[42:43], off nt
	v_cmp_eq_u32_e32 vcc, 0, v21
	v_mov_b32_e32 v21, 1
	s_and_saveexec_b64 s[56:57], vcc
	s_cbranch_execz .LBB2_118
; %bb.124:                              ;   in Loop: Header=BB2_119 Depth=3
	s_waitcnt vmcnt(0)
	v_cmp_ne_u32_e32 vcc, v59, v17
	v_cmp_ne_u32_e64 s[16:17], v59, v19
	s_or_b64 s[16:17], vcc, s[16:17]
	v_mov_b32_e32 v21, 0
	s_and_saveexec_b64 s[58:59], s[16:17]
	s_cbranch_execz .LBB2_117
; %bb.125:                              ;   in Loop: Header=BB2_119 Depth=3
	s_mov_b32 s24, 1
	s_mov_b64 s[62:63], 0
                                        ; implicit-def: $sgpr60_sgpr61
                                        ; implicit-def: $sgpr72_sgpr73
	s_branch .LBB2_127
.LBB2_126:                              ;   in Loop: Header=BB2_127 Depth=4
	s_or_b64 exec, exec, s[76:77]
	s_and_b64 s[16:17], exec, s[16:17]
	s_or_b64 s[62:63], s[16:17], s[62:63]
	s_andn2_b64 s[16:17], s[60:61], exec
	s_and_b64 s[60:61], s[72:73], exec
	s_or_b64 s[60:61], s[16:17], s[60:61]
	s_andn2_b64 exec, exec, s[62:63]
	s_cbranch_execz .LBB2_131
.LBB2_127:                              ;   Parent Loop BB2_24 Depth=1
                                        ;     Parent Loop BB2_73 Depth=2
                                        ;       Parent Loop BB2_119 Depth=3
                                        ; =>      This Inner Loop Header: Depth=4
	global_load_dwordx4 v[16:19], v[42:43], off nt
	s_add_i32 s24, s24, 1
	s_mov_b64 s[16:17], -1
	s_cmpk_lg_i32 s24, 0x2710
	s_mov_b64 s[74:75], -1
                                        ; implicit-def: $vgpr63
	s_cbranch_scc0 .LBB2_129
; %bb.128:                              ;   in Loop: Header=BB2_127 Depth=4
	s_or_b64 s[72:73], s[72:73], exec
	s_and_saveexec_b64 s[76:77], s[74:75]
	s_cbranch_execz .LBB2_126
	s_branch .LBB2_130
.LBB2_129:                              ;   in Loop: Header=BB2_127 Depth=4
	s_trap 2
	ds_read_b64 v[72:73], v0
	s_mov_b32 s24, 0
	s_waitcnt vmcnt(0) lgkmcnt(0)
	flat_load_dword v63, v[72:73] sc0 sc1
	s_waitcnt vmcnt(0) lgkmcnt(0)
	buffer_inv sc0 sc1
	v_cmp_eq_u32_e32 vcc, 0, v63
	s_orn2_b64 s[74:75], vcc, exec
	s_or_b64 s[72:73], s[72:73], exec
	s_and_saveexec_b64 s[76:77], s[74:75]
	s_cbranch_execz .LBB2_126
.LBB2_130:                              ;   in Loop: Header=BB2_127 Depth=4
	s_waitcnt vmcnt(0)
	v_cmp_eq_u32_e32 vcc, v59, v17
	v_cmp_eq_u32_e64 s[16:17], v59, v19
	s_and_b64 s[16:17], vcc, s[16:17]
	s_andn2_b64 s[72:73], s[72:73], exec
	s_orn2_b64 s[16:17], s[16:17], exec
	s_branch .LBB2_126
.LBB2_131:                              ;   in Loop: Header=BB2_119 Depth=3
	s_or_b64 exec, exec, s[62:63]
	v_mov_b32_e32 v21, 0
	s_and_saveexec_b64 s[16:17], s[60:61]
	s_xor_b64 s[16:17], exec, s[16:17]
	s_cbranch_execz .LBB2_116
; %bb.132:                              ;   in Loop: Header=BB2_119 Depth=3
	v_mov_b32_e32 v21, 1
	ds_write_b32 v0, v63
	s_trap 2
	s_branch .LBB2_116
.LBB2_133:                              ;   in Loop: Header=BB2_73 Depth=2
	s_or_b64 exec, exec, s[46:47]
	s_or_b64 exec, exec, s[44:45]
	s_and_saveexec_b64 s[16:17], s[6:7]
	s_cbranch_execz .LBB2_110
.LBB2_134:                              ;   in Loop: Header=BB2_73 Depth=2
	s_and_saveexec_b64 s[44:45], s[28:29]
	s_xor_b64 s[44:45], exec, s[44:45]
	s_cbranch_execz .LBB2_149
; %bb.135:                              ;   in Loop: Header=BB2_73 Depth=2
	s_and_saveexec_b64 s[46:47], s[8:9]
	s_cbranch_execz .LBB2_148
; %bb.136:                              ;   in Loop: Header=BB2_73 Depth=2
	s_mov_b64 s[58:59], exec
	v_mbcnt_lo_u32_b32 v2, s58, 0
	v_mbcnt_hi_u32_b32 v2, s59, v2
	v_cmp_eq_u32_e32 vcc, 0, v2
	buffer_wbl2 sc1
	s_waitcnt vmcnt(0) lgkmcnt(0)
	buffer_inv sc1
	s_and_saveexec_b64 s[56:57], vcc
	s_cbranch_execz .LBB2_138
; %bb.137:                              ;   in Loop: Header=BB2_73 Depth=2
	s_bcnt1_i32_b64 s24, s[58:59]
	v_mov_b32_e32 v4, s24
	v_mov_b32_e32 v5, v67
	ds_add_u64 v0, v[4:5]
	s_trap 2
.LBB2_138:                              ;   in Loop: Header=BB2_73 Depth=2
	s_or_b64 exec, exec, s[56:57]
	s_trap 2
	ds_read_b64 v[4:5], v0
	s_waitcnt lgkmcnt(0)
	v_lshl_add_u64 v[54:55], v[54:55], 0, v[80:81]
	v_cmp_lt_u64_e32 vcc, v[4:5], v[54:55]
	s_and_saveexec_b64 s[56:57], vcc
	s_cbranch_execz .LBB2_147
; %bb.139:                              ;   in Loop: Header=BB2_73 Depth=2
	s_mov_b32 s24, 0
	s_mov_b64 s[58:59], 0
                                        ; implicit-def: $sgpr60_sgpr61
                                        ; implicit-def: $sgpr62_sgpr63
	s_branch .LBB2_141
.LBB2_140:                              ;   in Loop: Header=BB2_141 Depth=3
	s_or_b64 exec, exec, s[74:75]
	s_and_b64 s[72:73], exec, s[76:77]
	s_or_b64 s[58:59], s[72:73], s[58:59]
	s_andn2_b64 s[60:61], s[60:61], exec
	s_and_b64 s[72:73], s[62:63], exec
	s_or_b64 s[60:61], s[60:61], s[72:73]
	s_andn2_b64 exec, exec, s[58:59]
	s_cbranch_execz .LBB2_145
.LBB2_141:                              ;   Parent Loop BB2_24 Depth=1
                                        ;     Parent Loop BB2_73 Depth=2
                                        ; =>    This Inner Loop Header: Depth=3
	s_add_i32 s24, s24, 1
	s_cmpk_lg_i32 s24, 0x2710
	s_cselect_b64 s[72:73], -1, 0
	s_and_b64 vcc, exec, s[72:73]
	s_cbranch_vccz .LBB2_143
; %bb.142:                              ;   in Loop: Header=BB2_141 Depth=3
	s_mov_b64 s[76:77], -1
	s_or_b64 s[62:63], s[62:63], exec
	s_and_saveexec_b64 s[74:75], s[72:73]
	s_cbranch_execz .LBB2_140
	s_branch .LBB2_144
.LBB2_143:                              ;   in Loop: Header=BB2_141 Depth=3
	s_trap 2
	ds_read_b64 v[4:5], v0
	s_andn2_b64 s[72:73], s[72:73], exec
	s_mov_b32 s24, 0
	s_waitcnt lgkmcnt(0)
	flat_load_dword v2, v[4:5] sc0 sc1
	s_waitcnt vmcnt(0) lgkmcnt(0)
	buffer_inv sc0 sc1
	v_cmp_eq_u32_e32 vcc, 0, v2
	s_and_b64 s[74:75], vcc, exec
	s_or_b64 s[72:73], s[72:73], s[74:75]
	s_mov_b64 s[76:77], -1
	s_or_b64 s[62:63], s[62:63], exec
	s_and_saveexec_b64 s[74:75], s[72:73]
	s_cbranch_execz .LBB2_140
.LBB2_144:                              ;   in Loop: Header=BB2_141 Depth=3
	s_sleep 1
	s_trap 2
	ds_read_b64 v[4:5], v0
	s_waitcnt lgkmcnt(0)
	s_andn2_b64 s[62:63], s[62:63], exec
	v_cmp_ge_u64_e32 vcc, v[4:5], v[54:55]
	s_orn2_b64 s[76:77], vcc, exec
	s_branch .LBB2_140
.LBB2_145:                              ;   in Loop: Header=BB2_73 Depth=2
	s_or_b64 exec, exec, s[58:59]
	s_and_saveexec_b64 s[58:59], s[60:61]
	s_xor_b64 s[58:59], exec, s[58:59]
	s_cbranch_execz .LBB2_147
; %bb.146:                              ;   in Loop: Header=BB2_73 Depth=2
	ds_write_b32 v0, v1
	s_trap 2
.LBB2_147:                              ;   in Loop: Header=BB2_73 Depth=2
	s_or_b64 exec, exec, s[56:57]
	;;#ASMSTART
	s_wakeup
	;;#ASMEND
.LBB2_148:                              ;   in Loop: Header=BB2_73 Depth=2
	s_or_b64 exec, exec, s[46:47]
.LBB2_149:                              ;   in Loop: Header=BB2_73 Depth=2
	s_andn2_saveexec_b64 s[44:45], s[44:45]
	s_cbranch_execz .LBB2_151
; %bb.150:                              ;   in Loop: Header=BB2_73 Depth=2
	buffer_wbl2 sc1
	s_waitcnt vmcnt(0) lgkmcnt(0)
	buffer_inv sc1
	s_barrier
.LBB2_151:                              ;   in Loop: Header=BB2_73 Depth=2
	s_or_b64 exec, exec, s[44:45]
	s_or_b64 exec, exec, s[16:17]
	s_and_saveexec_b64 s[16:17], s[10:11]
	s_cbranch_execnz .LBB2_111
	s_branch .LBB2_112
.LBB2_152:                              ;   in Loop: Header=BB2_24 Depth=1
	v_mov_b64_e32 v[16:17], v[114:115]
	s_and_saveexec_b64 s[16:17], s[14:15]
	s_cbranch_execnz .LBB2_155
; %bb.153:                              ;   in Loop: Header=BB2_24 Depth=1
	s_or_b64 exec, exec, s[16:17]
	s_and_saveexec_b64 s[14:15], s[6:7]
	s_cbranch_execnz .LBB2_192
.LBB2_154:                              ;   in Loop: Header=BB2_24 Depth=1
	s_or_b64 exec, exec, s[14:15]
	s_and_saveexec_b64 s[14:15], s[10:11]
	s_cbranch_execz .LBB2_23
	s_branch .LBB2_210
.LBB2_155:                              ;   in Loop: Header=BB2_24 Depth=1
	flat_load_dword v66, v[22:23]
	s_waitcnt vmcnt(0) lgkmcnt(0)
	v_and_b32_e32 v4, 7, v34
	v_mul_lo_u32 v4, v4, s90
	v_ashrrev_i32_e32 v5, 31, v4
	v_lshl_add_u64 v[2:3], v[10:11], 0, v[112:113]
	v_lshl_add_u64 v[18:19], v[8:9], 0, v[112:113]
	;; [unrolled: 1-line block ×3, first 2 shown]
	v_add_u32_e32 v40, 1, v34
	s_mov_b64 s[44:45], 0
	v_mov_b32_e32 v116, v0
	v_ashrrev_i32_e32 v4, 31, v66
	v_mul_lo_u32 v5, v69, v66
	v_mad_u64_u32 v[2:3], s[14:15], v68, v66, v[2:3]
	v_mul_lo_u32 v4, v68, v4
	v_add3_u32 v3, v5, v3, v4
	v_lshl_add_u64 v[114:115], v[2:3], 0, v[82:83]
	s_branch .LBB2_157
.LBB2_156:                              ;   in Loop: Header=BB2_157 Depth=2
	v_sub_u32_e32 v56, v56, v84
	v_cmp_gt_i32_e32 vcc, 1, v56
	v_lshl_add_u64 v[114:115], v[114:115], 0, v[84:85]
	v_lshl_add_u64 v[18:19], v[18:19], 0, v[84:85]
	s_or_b64 s[44:45], vcc, s[44:45]
	v_add_u32_e32 v116, v116, v20
	s_andn2_b64 exec, exec, s[44:45]
	s_cbranch_execz .LBB2_191
.LBB2_157:                              ;   Parent Loop BB2_24 Depth=1
                                        ; =>  This Loop Header: Depth=2
                                        ;       Child Loop BB2_165 Depth 3
	v_and_b32_e32 v2, -4, v114
	v_mov_b32_e32 v3, v115
	global_load_dword v41, v[2:3], off nt
	v_min_u32_e32 v4, 8, v56
	v_and_b32_e32 v5, 3, v114
	v_add_u32_e32 v66, v5, v4
	v_cmp_lt_u32_e32 vcc, 4, v66
	v_mov_b32_e32 v42, 0
	v_mov_b32_e32 v43, 0
	s_and_saveexec_b64 s[14:15], vcc
	s_cbranch_execz .LBB2_159
; %bb.158:                              ;   in Loop: Header=BB2_157 Depth=2
	global_load_dword v43, v[2:3], off offset:4 nt
.LBB2_159:                              ;   in Loop: Header=BB2_157 Depth=2
	s_or_b64 exec, exec, s[14:15]
	v_cmp_lt_u64_e32 vcc, 8, v[66:67]
	s_and_saveexec_b64 s[14:15], vcc
	s_cbranch_execz .LBB2_161
; %bb.160:                              ;   in Loop: Header=BB2_157 Depth=2
	global_load_dword v42, v[2:3], off offset:8 nt
.LBB2_161:                              ;   in Loop: Header=BB2_157 Depth=2
	s_or_b64 exec, exec, s[14:15]
	v_mov_b32_e32 v117, v67
	v_lshl_add_u64 v[118:119], v[116:117], 4, v[112:113]
	global_load_dwordx4 v[2:5], v[118:119], off nt
	v_cmp_eq_u32_e32 vcc, 0, v21
	v_mov_b32_e32 v21, 1
	s_and_saveexec_b64 s[46:47], vcc
	s_cbranch_execz .LBB2_173
; %bb.162:                              ;   in Loop: Header=BB2_157 Depth=2
	s_waitcnt vmcnt(0)
	v_cmp_ne_u32_e32 vcc, v40, v3
	v_cmp_ne_u32_e64 s[14:15], v40, v5
	s_or_b64 s[14:15], vcc, s[14:15]
	v_mov_b32_e32 v21, 0
	s_and_saveexec_b64 s[56:57], s[14:15]
	s_cbranch_execz .LBB2_172
; %bb.163:                              ;   in Loop: Header=BB2_157 Depth=2
	s_mov_b32 s24, 1
	s_mov_b64 s[60:61], 0
                                        ; implicit-def: $sgpr58_sgpr59
                                        ; implicit-def: $sgpr62_sgpr63
	s_branch .LBB2_165
.LBB2_164:                              ;   in Loop: Header=BB2_165 Depth=3
	s_or_b64 exec, exec, s[74:75]
	s_and_b64 s[14:15], exec, s[14:15]
	s_or_b64 s[60:61], s[14:15], s[60:61]
	s_andn2_b64 s[14:15], s[58:59], exec
	s_and_b64 s[58:59], s[62:63], exec
	s_or_b64 s[58:59], s[14:15], s[58:59]
	s_andn2_b64 exec, exec, s[60:61]
	s_cbranch_execz .LBB2_169
.LBB2_165:                              ;   Parent Loop BB2_24 Depth=1
                                        ;     Parent Loop BB2_157 Depth=2
                                        ; =>    This Inner Loop Header: Depth=3
	global_load_dwordx4 v[2:5], v[118:119], off nt
	s_add_i32 s24, s24, 1
	s_mov_b64 s[14:15], -1
	s_cmpk_lg_i32 s24, 0x2710
	s_mov_b64 s[72:73], -1
                                        ; implicit-def: $vgpr66
	s_cbranch_scc0 .LBB2_167
; %bb.166:                              ;   in Loop: Header=BB2_165 Depth=3
	s_or_b64 s[62:63], s[62:63], exec
	s_and_saveexec_b64 s[74:75], s[72:73]
	s_cbranch_execz .LBB2_164
	s_branch .LBB2_168
.LBB2_167:                              ;   in Loop: Header=BB2_165 Depth=3
	s_trap 2
	ds_read_b64 v[58:59], v0
	s_mov_b32 s24, 0
	s_waitcnt vmcnt(0) lgkmcnt(0)
	flat_load_dword v66, v[58:59] sc0 sc1
	s_waitcnt vmcnt(0) lgkmcnt(0)
	buffer_inv sc0 sc1
	v_cmp_eq_u32_e32 vcc, 0, v66
	s_orn2_b64 s[72:73], vcc, exec
	s_or_b64 s[62:63], s[62:63], exec
	s_and_saveexec_b64 s[74:75], s[72:73]
	s_cbranch_execz .LBB2_164
.LBB2_168:                              ;   in Loop: Header=BB2_165 Depth=3
	s_waitcnt vmcnt(0)
	v_cmp_eq_u32_e32 vcc, v40, v3
	v_cmp_eq_u32_e64 s[14:15], v40, v5
	s_and_b64 s[14:15], vcc, s[14:15]
	s_andn2_b64 s[62:63], s[62:63], exec
	s_orn2_b64 s[14:15], s[14:15], exec
	s_branch .LBB2_164
.LBB2_169:                              ;   in Loop: Header=BB2_157 Depth=2
	s_or_b64 exec, exec, s[60:61]
	v_mov_b32_e32 v21, 0
	s_and_saveexec_b64 s[14:15], s[58:59]
	s_xor_b64 s[14:15], exec, s[14:15]
	s_cbranch_execz .LBB2_171
; %bb.170:                              ;   in Loop: Header=BB2_157 Depth=2
	v_mov_b32_e32 v21, 1
	ds_write_b32 v0, v66
	s_trap 2
.LBB2_171:                              ;   in Loop: Header=BB2_157 Depth=2
	s_or_b64 exec, exec, s[14:15]
.LBB2_172:                              ;   in Loop: Header=BB2_157 Depth=2
	s_or_b64 exec, exec, s[56:57]
.LBB2_173:                              ;   in Loop: Header=BB2_157 Depth=2
	s_or_b64 exec, exec, s[46:47]
	s_waitcnt vmcnt(0)
	v_lshlrev_b32_e32 v3, 3, v114
	v_alignbit_b32 v5, v43, v41, v3
	v_alignbit_b32 v3, v42, v43, v3
	v_and_b32_e32 v66, 0xff00ff, v2
	v_and_b32_e32 v117, 0xff00ff, v5
	;; [unrolled: 1-line block ×4, first 2 shown]
	v_add_u32_e32 v66, v66, v117
	v_add_u32_e32 v5, v2, v5
	v_and_b32_e32 v2, 0xff00ff, v4
	v_and_b32_e32 v118, 0xff00ff, v3
	v_add_u32_e32 v118, v2, v118
	v_and_b32_e32 v2, 0xff00ff00, v4
	v_and_b32_e32 v3, 0xff00ff00, v3
	v_cmp_lt_i16_sdwa s[14:15], sext(v66), v67 src0_sel:BYTE_0 src1_sel:DWORD
	v_add_u32_e32 v119, v2, v3
	v_sub_u16_e32 v2, 0, v66
	s_and_b64 vcc, s[12:13], s[14:15]
	v_cndmask_b32_e32 v2, v66, v2, vcc
	v_and_b32_e32 v2, 0xff, v2
	v_mul_hi_u32 v3, v2, v30
	v_mul_lo_u32 v4, v46, v3
	v_sub_u32_e32 v2, v2, v4
	v_cmp_ge_u32_e64 s[14:15], v2, v46
	v_perm_b32 v117, v5, v66, s91
	v_and_b32_e32 v4, 0x8000, v117
	v_addc_co_u32_e64 v2, s[14:15], 0, v3, s[14:15]
	v_sub_u32_e32 v3, 0, v2
	v_cndmask_b32_e32 v2, v2, v3, vcc
	v_lshrrev_b32_e32 v3, 8, v5
	v_cmp_ne_u32_e32 vcc, 0, v4
	v_sub_u16_e32 v4, 0, v3
	s_and_b64 vcc, s[12:13], vcc
	v_cndmask_b32_e32 v3, v3, v4, vcc
	v_and_b32_e32 v3, 0xff, v3
	v_mul_hi_u32 v4, v3, v30
	v_mul_lo_u32 v42, v46, v4
	v_sub_u32_e32 v3, v3, v42
	v_cmp_ge_u32_e64 s[14:15], v3, v46
	v_lshrrev_b32_e32 v5, 24, v5
	v_perm_b32 v41, v119, v118, s91
	v_addc_co_u32_e64 v3, s[14:15], 0, v4, s[14:15]
	v_sub_u32_e32 v4, 0, v3
	v_cndmask_b32_e32 v3, v3, v4, vcc
	v_lshrrev_b32_e32 v4, 16, v66
	v_cmp_lt_i16_sdwa s[14:15], sext(v4), v67 src0_sel:BYTE_0 src1_sel:DWORD
	v_sub_u16_e32 v66, 0, v4
	s_and_b64 vcc, s[12:13], s[14:15]
	v_cndmask_b32_e32 v4, v4, v66, vcc
	v_and_b32_e32 v4, 0xff, v4
	v_mul_hi_u32 v66, v4, v30
	v_mul_lo_u32 v42, v46, v66
	v_sub_u32_e32 v4, v4, v42
	v_cmp_ge_u32_e64 s[14:15], v4, v46
	s_nop 1
	v_addc_co_u32_e64 v4, s[14:15], 0, v66, s[14:15]
	v_sub_u32_e32 v66, 0, v4
	v_cndmask_b32_e32 v4, v4, v66, vcc
	v_and_b32_e32 v66, v45, v117
	v_sub_u16_e32 v117, 0, v5
	v_cmp_lt_i32_e32 vcc, -1, v66
	s_nop 1
	v_cndmask_b32_e32 v5, v117, v5, vcc
	v_and_b32_e32 v5, 0xff, v5
	v_mul_hi_u32 v66, v5, v30
	v_mul_lo_u32 v117, v46, v66
	v_sub_u32_e32 v5, v5, v117
	v_cmp_ge_u32_e64 s[14:15], v5, v46
	s_nop 1
	v_addc_co_u32_e64 v5, s[14:15], 0, v66, s[14:15]
	v_sub_u32_e32 v66, 0, v5
	v_cmp_lt_i16_sdwa s[14:15], sext(v118), v67 src0_sel:BYTE_0 src1_sel:DWORD
	v_cndmask_b32_e32 v5, v66, v5, vcc
	v_sub_u16_e32 v66, 0, v118
	s_and_b64 vcc, s[12:13], s[14:15]
	v_cndmask_b32_e32 v66, v118, v66, vcc
	v_and_b32_e32 v66, 0xff, v66
	v_mul_hi_u32 v117, v66, v30
	v_mul_lo_u32 v42, v46, v117
	v_sub_u32_e32 v66, v66, v42
	v_cmp_ge_u32_e64 s[14:15], v66, v46
	v_and_b32_e32 v42, 0x8000, v41
	v_lshrrev_b32_e32 v118, 16, v118
	v_addc_co_u32_e64 v66, s[14:15], 0, v117, s[14:15]
	v_sub_u32_e32 v117, 0, v66
	v_cndmask_b32_e32 v66, v66, v117, vcc
	v_lshrrev_b32_e32 v117, 8, v119
	v_cmp_ne_u32_e32 vcc, 0, v42
	v_sub_u16_e32 v42, 0, v117
	s_and_b64 vcc, s[12:13], vcc
	v_cndmask_b32_e32 v117, v117, v42, vcc
	v_and_b32_e32 v117, 0xff, v117
	v_mul_hi_u32 v42, v117, v30
	v_mul_lo_u32 v43, v46, v42
	v_sub_u32_e32 v117, v117, v43
	v_cmp_ge_u32_e64 s[14:15], v117, v46
	v_lshrrev_b32_e32 v119, 24, v119
	v_and_b32_e32 v41, v45, v41
	v_addc_co_u32_e64 v117, s[14:15], 0, v42, s[14:15]
	v_sub_u32_e32 v42, 0, v117
	v_cmp_lt_i16_sdwa s[14:15], sext(v118), v67 src0_sel:BYTE_0 src1_sel:DWORD
	v_cndmask_b32_e32 v117, v117, v42, vcc
	v_sub_u16_e32 v42, 0, v118
	s_and_b64 vcc, s[12:13], s[14:15]
	v_cndmask_b32_e32 v118, v118, v42, vcc
	v_and_b32_e32 v118, 0xff, v118
	v_mul_hi_u32 v42, v118, v30
	v_mul_lo_u32 v43, v46, v42
	v_sub_u32_e32 v118, v118, v43
	v_cmp_ge_u32_e64 s[14:15], v118, v46
	s_nop 1
	v_addc_co_u32_e64 v118, s[14:15], 0, v42, s[14:15]
	v_sub_u32_e32 v42, 0, v118
	v_cndmask_b32_e32 v118, v118, v42, vcc
	v_sub_u16_e32 v42, 0, v119
	v_cmp_lt_i32_e32 vcc, -1, v41
	s_nop 1
	v_cndmask_b32_e32 v119, v42, v119, vcc
	v_and_b32_e32 v119, 0xff, v119
	v_mul_hi_u32 v41, v119, v30
	v_mul_lo_u32 v42, v46, v41
	v_sub_u32_e32 v119, v119, v42
	v_cmp_ge_u32_e64 s[14:15], v119, v46
	s_nop 1
	v_addc_co_u32_e64 v119, s[14:15], 0, v41, s[14:15]
	v_sub_u32_e32 v41, 0, v119
	v_cndmask_b32_e32 v119, v41, v119, vcc
	v_cmp_lt_u32_e32 vcc, 7, v56
	s_cmp_lg_u64 vcc, exec
	s_mov_b64 s[14:15], -1
	s_cbranch_scc0 .LBB2_183
; %bb.174:                              ;   in Loop: Header=BB2_157 Depth=2
	v_cmp_ne_u32_e64 s[14:15], 1, v56
	flat_store_byte v[18:19], v2
	s_and_saveexec_b64 s[46:47], s[14:15]
	s_cbranch_execnz .LBB2_185
; %bb.175:                              ;   in Loop: Header=BB2_157 Depth=2
	s_or_b64 exec, exec, s[46:47]
	v_cmp_lt_u32_e64 s[14:15], 2, v56
	s_and_saveexec_b64 s[46:47], s[14:15]
	s_cbranch_execnz .LBB2_186
.LBB2_176:                              ;   in Loop: Header=BB2_157 Depth=2
	s_or_b64 exec, exec, s[46:47]
	v_cmp_lt_u32_e64 s[14:15], 3, v56
	s_and_saveexec_b64 s[46:47], s[14:15]
	s_cbranch_execnz .LBB2_187
.LBB2_177:                              ;   in Loop: Header=BB2_157 Depth=2
	s_or_b64 exec, exec, s[46:47]
	v_cmp_lt_u32_e64 s[14:15], 4, v56
	s_and_saveexec_b64 s[46:47], s[14:15]
	s_cbranch_execnz .LBB2_188
.LBB2_178:                              ;   in Loop: Header=BB2_157 Depth=2
	s_or_b64 exec, exec, s[46:47]
	v_cmp_lt_u32_e64 s[14:15], 5, v56
	s_and_saveexec_b64 s[46:47], s[14:15]
	s_cbranch_execnz .LBB2_189
.LBB2_179:                              ;   in Loop: Header=BB2_157 Depth=2
	s_or_b64 exec, exec, s[46:47]
	v_cmp_lt_u32_e64 s[14:15], 6, v56
	s_and_saveexec_b64 s[46:47], s[14:15]
	s_cbranch_execnz .LBB2_190
.LBB2_180:                              ;   in Loop: Header=BB2_157 Depth=2
	s_or_b64 exec, exec, s[46:47]
	s_and_saveexec_b64 s[14:15], vcc
	s_cbranch_execz .LBB2_182
.LBB2_181:                              ;   in Loop: Header=BB2_157 Depth=2
	flat_store_byte v[18:19], v119 offset:7
.LBB2_182:                              ;   in Loop: Header=BB2_157 Depth=2
	s_or_b64 exec, exec, s[14:15]
	s_mov_b64 s[14:15], 0
.LBB2_183:                              ;   in Loop: Header=BB2_157 Depth=2
	s_and_b64 vcc, exec, s[14:15]
	s_cbranch_vccz .LBB2_156
; %bb.184:                              ;   in Loop: Header=BB2_157 Depth=2
	v_perm_b32 v4, v5, v4, s92
	v_lshlrev_b32_e32 v3, 8, v3
	v_perm_b32 v2, v4, v2, s93
	v_and_or_b32 v2, v3, s94, v2
	v_and_b32_e32 v3, 0xff, v118
	v_lshlrev_b32_e32 v5, 8, v117
	v_lshlrev_b32_e32 v4, 24, v119
	;; [unrolled: 1-line block ×3, first 2 shown]
	v_perm_b32 v5, v5, v66, s95
	v_or3_b32 v3, v4, v3, v5
	global_store_dwordx2 v[18:19], v[2:3], off
	s_branch .LBB2_156
.LBB2_185:                              ;   in Loop: Header=BB2_157 Depth=2
	flat_store_byte v[18:19], v3 offset:1
	s_or_b64 exec, exec, s[46:47]
	v_cmp_lt_u32_e64 s[14:15], 2, v56
	s_and_saveexec_b64 s[46:47], s[14:15]
	s_cbranch_execz .LBB2_176
.LBB2_186:                              ;   in Loop: Header=BB2_157 Depth=2
	flat_store_byte v[18:19], v4 offset:2
	s_or_b64 exec, exec, s[46:47]
	v_cmp_lt_u32_e64 s[14:15], 3, v56
	s_and_saveexec_b64 s[46:47], s[14:15]
	s_cbranch_execz .LBB2_177
.LBB2_187:                              ;   in Loop: Header=BB2_157 Depth=2
	flat_store_byte v[18:19], v5 offset:3
	s_or_b64 exec, exec, s[46:47]
	v_cmp_lt_u32_e64 s[14:15], 4, v56
	s_and_saveexec_b64 s[46:47], s[14:15]
	s_cbranch_execz .LBB2_178
.LBB2_188:                              ;   in Loop: Header=BB2_157 Depth=2
	flat_store_byte v[18:19], v66 offset:4
	s_or_b64 exec, exec, s[46:47]
	v_cmp_lt_u32_e64 s[14:15], 5, v56
	s_and_saveexec_b64 s[46:47], s[14:15]
	s_cbranch_execz .LBB2_179
.LBB2_189:                              ;   in Loop: Header=BB2_157 Depth=2
	flat_store_byte v[18:19], v117 offset:5
	s_or_b64 exec, exec, s[46:47]
	v_cmp_lt_u32_e64 s[14:15], 6, v56
	s_and_saveexec_b64 s[46:47], s[14:15]
	s_cbranch_execz .LBB2_180
.LBB2_190:                              ;   in Loop: Header=BB2_157 Depth=2
	flat_store_byte v[18:19], v118 offset:6
	s_or_b64 exec, exec, s[46:47]
	s_and_saveexec_b64 s[14:15], vcc
	s_cbranch_execnz .LBB2_181
	s_branch .LBB2_182
.LBB2_191:                              ;   in Loop: Header=BB2_24 Depth=1
	s_or_b64 exec, exec, s[44:45]
	s_or_b64 exec, exec, s[16:17]
	s_and_saveexec_b64 s[14:15], s[6:7]
	s_cbranch_execz .LBB2_154
.LBB2_192:                              ;   in Loop: Header=BB2_24 Depth=1
	s_and_saveexec_b64 s[16:17], s[28:29]
	s_xor_b64 s[16:17], exec, s[16:17]
	s_cbranch_execz .LBB2_207
; %bb.193:                              ;   in Loop: Header=BB2_24 Depth=1
	s_and_saveexec_b64 s[44:45], s[8:9]
	s_cbranch_execz .LBB2_206
; %bb.194:                              ;   in Loop: Header=BB2_24 Depth=1
	s_mov_b64 s[56:57], exec
	v_mbcnt_lo_u32_b32 v2, s56, 0
	v_mbcnt_hi_u32_b32 v2, s57, v2
	v_cmp_eq_u32_e32 vcc, 0, v2
	buffer_wbl2 sc1
	s_waitcnt vmcnt(0) lgkmcnt(0)
	buffer_inv sc1
	s_and_saveexec_b64 s[46:47], vcc
	s_cbranch_execz .LBB2_196
; %bb.195:                              ;   in Loop: Header=BB2_24 Depth=1
	s_bcnt1_i32_b64 s24, s[56:57]
	v_mov_b32_e32 v66, s24
	ds_add_u64 v0, v[66:67]
	s_trap 2
.LBB2_196:                              ;   in Loop: Header=BB2_24 Depth=1
	s_or_b64 exec, exec, s[46:47]
	s_trap 2
	ds_read_b64 v[2:3], v0
	s_waitcnt lgkmcnt(0)
	v_lshl_add_u64 v[54:55], v[54:55], 0, v[80:81]
	v_cmp_lt_u64_e32 vcc, v[2:3], v[54:55]
	s_and_saveexec_b64 s[46:47], vcc
	s_cbranch_execz .LBB2_205
; %bb.197:                              ;   in Loop: Header=BB2_24 Depth=1
	s_mov_b32 s24, 0
	s_mov_b64 s[56:57], 0
                                        ; implicit-def: $sgpr58_sgpr59
                                        ; implicit-def: $sgpr60_sgpr61
	s_branch .LBB2_199
.LBB2_198:                              ;   in Loop: Header=BB2_199 Depth=2
	s_or_b64 exec, exec, s[72:73]
	s_and_b64 s[62:63], exec, s[74:75]
	s_or_b64 s[56:57], s[62:63], s[56:57]
	s_andn2_b64 s[58:59], s[58:59], exec
	s_and_b64 s[62:63], s[60:61], exec
	s_or_b64 s[58:59], s[58:59], s[62:63]
	s_andn2_b64 exec, exec, s[56:57]
	s_cbranch_execz .LBB2_203
.LBB2_199:                              ;   Parent Loop BB2_24 Depth=1
                                        ; =>  This Inner Loop Header: Depth=2
	s_add_i32 s24, s24, 1
	s_cmpk_lg_i32 s24, 0x2710
	s_cselect_b64 s[62:63], -1, 0
	s_and_b64 vcc, exec, s[62:63]
	s_cbranch_vccz .LBB2_201
; %bb.200:                              ;   in Loop: Header=BB2_199 Depth=2
	s_mov_b64 s[74:75], -1
	s_or_b64 s[60:61], s[60:61], exec
	s_and_saveexec_b64 s[72:73], s[62:63]
	s_cbranch_execz .LBB2_198
	s_branch .LBB2_202
.LBB2_201:                              ;   in Loop: Header=BB2_199 Depth=2
	s_trap 2
	ds_read_b64 v[2:3], v0
	s_andn2_b64 s[62:63], s[62:63], exec
	s_mov_b32 s24, 0
	s_waitcnt lgkmcnt(0)
	flat_load_dword v2, v[2:3] sc0 sc1
	s_waitcnt vmcnt(0) lgkmcnt(0)
	buffer_inv sc0 sc1
	v_cmp_eq_u32_e32 vcc, 0, v2
	s_and_b64 s[72:73], vcc, exec
	s_or_b64 s[62:63], s[62:63], s[72:73]
	s_mov_b64 s[74:75], -1
	s_or_b64 s[60:61], s[60:61], exec
	s_and_saveexec_b64 s[72:73], s[62:63]
	s_cbranch_execz .LBB2_198
.LBB2_202:                              ;   in Loop: Header=BB2_199 Depth=2
	s_sleep 1
	s_trap 2
	ds_read_b64 v[2:3], v0
	s_waitcnt lgkmcnt(0)
	s_andn2_b64 s[60:61], s[60:61], exec
	v_cmp_ge_u64_e32 vcc, v[2:3], v[54:55]
	s_orn2_b64 s[74:75], vcc, exec
	s_branch .LBB2_198
.LBB2_203:                              ;   in Loop: Header=BB2_24 Depth=1
	s_or_b64 exec, exec, s[56:57]
	s_and_saveexec_b64 s[56:57], s[58:59]
	s_xor_b64 s[56:57], exec, s[56:57]
	s_cbranch_execz .LBB2_205
; %bb.204:                              ;   in Loop: Header=BB2_24 Depth=1
	ds_write_b32 v0, v1
	s_trap 2
.LBB2_205:                              ;   in Loop: Header=BB2_24 Depth=1
	s_or_b64 exec, exec, s[46:47]
	;;#ASMSTART
	s_wakeup
	;;#ASMEND
.LBB2_206:                              ;   in Loop: Header=BB2_24 Depth=1
	s_or_b64 exec, exec, s[44:45]
.LBB2_207:                              ;   in Loop: Header=BB2_24 Depth=1
	s_andn2_saveexec_b64 s[16:17], s[16:17]
	s_cbranch_execz .LBB2_209
; %bb.208:                              ;   in Loop: Header=BB2_24 Depth=1
	buffer_wbl2 sc1
	s_waitcnt vmcnt(0) lgkmcnt(0)
	buffer_inv sc1
	s_barrier
.LBB2_209:                              ;   in Loop: Header=BB2_24 Depth=1
	s_or_b64 exec, exec, s[16:17]
	s_or_b64 exec, exec, s[14:15]
	s_and_saveexec_b64 s[14:15], s[10:11]
	s_cbranch_execz .LBB2_23
.LBB2_210:                              ;   in Loop: Header=BB2_24 Depth=1
	v_lshl_add_u64 v[38:39], v[38:39], 0, 1
	flat_store_dwordx2 v[48:49], v[38:39] sc0 sc1
	s_branch .LBB2_23
.LBB2_211:
	s_or_b64 exec, exec, s[26:27]
	s_or_b64 exec, exec, s[22:23]
	s_and_saveexec_b64 s[2:3], s[20:21]
	s_cbranch_execz .LBB2_20
.LBB2_212:
	s_waitcnt vmcnt(0) lgkmcnt(0)
	flat_store_dwordx2 v[28:29], v[38:39] offset:104
	s_or_b64 exec, exec, s[2:3]
	s_and_saveexec_b64 s[2:3], s[0:1]
	s_cbranch_execz .LBB2_21
.LBB2_213:
	s_waitcnt vmcnt(0) lgkmcnt(0)
	flat_store_dwordx2 v[26:27], v[14:15] offset:104
	s_or_b64 exec, exec, s[2:3]
	v_cmp_ne_u32_e32 vcc, 64, v20
	s_and_saveexec_b64 s[0:1], vcc
	s_cbranch_execz .LBB2_231
.LBB2_214:
	v_cmp_ne_u32_sdwa s[2:3], v20, v44 src0_sel:DWORD src1_sel:WORD_0
	s_and_saveexec_b64 s[4:5], s[2:3]
	s_xor_b64 s[2:3], exec, s[4:5]
	s_cbranch_execz .LBB2_229
; %bb.215:
	v_and_b32_e32 v0, 63, v31
	v_cmp_eq_u32_e32 vcc, 0, v0
	s_and_saveexec_b64 s[4:5], vcc
	s_cbranch_execz .LBB2_228
; %bb.216:
	s_mov_b64 s[8:9], exec
	v_mbcnt_lo_u32_b32 v0, s8, 0
	v_mbcnt_hi_u32_b32 v0, s9, v0
	v_cmp_eq_u32_e32 vcc, 0, v0
	buffer_wbl2 sc1
	s_waitcnt vmcnt(0) lgkmcnt(0)
	buffer_inv sc1
	s_and_saveexec_b64 s[6:7], vcc
	s_cbranch_execz .LBB2_218
; %bb.217:
	s_bcnt1_i32_b64 s8, s[8:9]
	v_mov_b32_e32 v0, s8
	v_mov_b32_e32 v1, 0
	ds_add_u64 v0, v[0:1]
	s_trap 2
.LBB2_218:
	s_or_b64 exec, exec, s[6:7]
	s_trap 2
	ds_read_b64 v[2:3], v0
	s_waitcnt lgkmcnt(0)
	v_lshrrev_b32_e32 v0, 6, v20
	v_mov_b32_e32 v1, 0
	v_lshl_add_u64 v[0:1], v[54:55], 0, v[0:1]
	v_cmp_lt_u64_e32 vcc, v[2:3], v[0:1]
	s_and_saveexec_b64 s[6:7], vcc
	s_cbranch_execz .LBB2_227
; %bb.219:
	s_mov_b32 s20, 0
	s_mov_b64 s[8:9], 0
                                        ; implicit-def: $sgpr10_sgpr11
                                        ; implicit-def: $sgpr12_sgpr13
	s_branch .LBB2_221
.LBB2_220:                              ;   in Loop: Header=BB2_221 Depth=1
	s_or_b64 exec, exec, s[16:17]
	s_and_b64 s[14:15], exec, s[18:19]
	s_or_b64 s[8:9], s[14:15], s[8:9]
	s_andn2_b64 s[10:11], s[10:11], exec
	s_and_b64 s[14:15], s[12:13], exec
	s_or_b64 s[10:11], s[10:11], s[14:15]
	s_andn2_b64 exec, exec, s[8:9]
	s_cbranch_execz .LBB2_225
.LBB2_221:                              ; =>This Inner Loop Header: Depth=1
	s_add_i32 s20, s20, 1
	s_cmpk_lg_i32 s20, 0x2710
	s_cselect_b64 s[14:15], -1, 0
	s_and_b64 vcc, exec, s[14:15]
	s_cbranch_vccz .LBB2_223
; %bb.222:                              ;   in Loop: Header=BB2_221 Depth=1
	s_mov_b64 s[18:19], -1
	s_or_b64 s[12:13], s[12:13], exec
	s_and_saveexec_b64 s[16:17], s[14:15]
	s_cbranch_execz .LBB2_220
	s_branch .LBB2_224
.LBB2_223:                              ;   in Loop: Header=BB2_221 Depth=1
	s_trap 2
	ds_read_b64 v[2:3], v0
	s_andn2_b64 s[14:15], s[14:15], exec
	s_mov_b32 s20, 0
	s_waitcnt lgkmcnt(0)
	flat_load_dword v2, v[2:3] sc0 sc1
	s_waitcnt vmcnt(0) lgkmcnt(0)
	buffer_inv sc0 sc1
	v_cmp_eq_u32_e32 vcc, 0, v2
	s_and_b64 s[16:17], vcc, exec
	s_or_b64 s[14:15], s[14:15], s[16:17]
	s_mov_b64 s[18:19], -1
	s_or_b64 s[12:13], s[12:13], exec
	s_and_saveexec_b64 s[16:17], s[14:15]
	s_cbranch_execz .LBB2_220
.LBB2_224:                              ;   in Loop: Header=BB2_221 Depth=1
	s_sleep 1
	s_trap 2
	ds_read_b64 v[2:3], v0
	s_waitcnt lgkmcnt(0)
	s_andn2_b64 s[12:13], s[12:13], exec
	v_cmp_ge_u64_e32 vcc, v[2:3], v[0:1]
	s_orn2_b64 s[18:19], vcc, exec
	s_branch .LBB2_220
.LBB2_225:
	s_or_b64 exec, exec, s[8:9]
	s_and_saveexec_b64 s[8:9], s[10:11]
	s_xor_b64 s[8:9], exec, s[8:9]
	s_cbranch_execz .LBB2_227
; %bb.226:
	v_mov_b32_e32 v0, 1
	ds_write_b32 v0, v0
	s_trap 2
.LBB2_227:
	s_or_b64 exec, exec, s[6:7]
	;;#ASMSTART
	s_wakeup
	;;#ASMEND
.LBB2_228:
	s_or_b64 exec, exec, s[4:5]
.LBB2_229:
	s_andn2_saveexec_b64 s[2:3], s[2:3]
	s_cbranch_execz .LBB2_231
; %bb.230:
	buffer_wbl2 sc1
	s_waitcnt vmcnt(0) lgkmcnt(0)
	buffer_inv sc1
	s_barrier
.LBB2_231:
	s_or_b64 exec, exec, s[0:1]
	scratch_load_dword v73, off, s32        ; 4-byte Folded Reload
	scratch_load_dword v72, off, s32 offset:4 ; 4-byte Folded Reload
	scratch_load_dword v63, off, s32 offset:8 ; 4-byte Folded Reload
	;; [unrolled: 1-line block ×17, first 2 shown]
	v_readlane_b32 s30, v74, 0
	v_readlane_b32 s31, v74, 1
	s_or_saveexec_b64 s[0:1], -1
	scratch_load_dword v74, off, s32 offset:72 ; 4-byte Folded Reload
	s_mov_b64 exec, s[0:1]
	s_waitcnt vmcnt(0) lgkmcnt(0)
	s_setpc_b64 s[30:31]
.Lfunc_end2:
	.size	_ZN12_GLOBAL__N_17runRingIh14FuncSumPostDivIhE7ProtoLLLi0ELi2ELi0EEEviiP15ncclDevWorkColl, .Lfunc_end2-_ZN12_GLOBAL__N_17runRingIh14FuncSumPostDivIhE7ProtoLLLi0ELi2ELi0EEEviiP15ncclDevWorkColl
                                        ; -- End function
	.set .L_ZN12_GLOBAL__N_17runRingIh14FuncSumPostDivIhE7ProtoLLLi0ELi2ELi0EEEviiP15ncclDevWorkColl.num_vgpr, 120
	.set .L_ZN12_GLOBAL__N_17runRingIh14FuncSumPostDivIhE7ProtoLLLi0ELi2ELi0EEEviiP15ncclDevWorkColl.num_agpr, 0
	.set .L_ZN12_GLOBAL__N_17runRingIh14FuncSumPostDivIhE7ProtoLLLi0ELi2ELi0EEEviiP15ncclDevWorkColl.numbered_sgpr, 96
	.set .L_ZN12_GLOBAL__N_17runRingIh14FuncSumPostDivIhE7ProtoLLLi0ELi2ELi0EEEviiP15ncclDevWorkColl.num_named_barrier, 0
	.set .L_ZN12_GLOBAL__N_17runRingIh14FuncSumPostDivIhE7ProtoLLLi0ELi2ELi0EEEviiP15ncclDevWorkColl.private_seg_size, 80
	.set .L_ZN12_GLOBAL__N_17runRingIh14FuncSumPostDivIhE7ProtoLLLi0ELi2ELi0EEEviiP15ncclDevWorkColl.uses_vcc, 1
	.set .L_ZN12_GLOBAL__N_17runRingIh14FuncSumPostDivIhE7ProtoLLLi0ELi2ELi0EEEviiP15ncclDevWorkColl.uses_flat_scratch, 0
	.set .L_ZN12_GLOBAL__N_17runRingIh14FuncSumPostDivIhE7ProtoLLLi0ELi2ELi0EEEviiP15ncclDevWorkColl.has_dyn_sized_stack, 0
	.set .L_ZN12_GLOBAL__N_17runRingIh14FuncSumPostDivIhE7ProtoLLLi0ELi2ELi0EEEviiP15ncclDevWorkColl.has_recursion, 0
	.set .L_ZN12_GLOBAL__N_17runRingIh14FuncSumPostDivIhE7ProtoLLLi0ELi2ELi0EEEviiP15ncclDevWorkColl.has_indirect_call, 0
	.section	.AMDGPU.csdata,"",@progbits
; Function info:
; codeLenInByte = 8052
; TotalNumSgprs: 102
; NumVgprs: 120
; NumAgprs: 0
; TotalNumVgprs: 120
; ScratchSize: 80
; MemoryBound: 0
	.text
	.p2align	2                               ; -- Begin function _Z53ncclDevFunc_ReduceScatter_RING_LL_SumPostDiv_u8_0_0_2v
	.type	_Z53ncclDevFunc_ReduceScatter_RING_LL_SumPostDiv_u8_0_0_2v,@function
_Z53ncclDevFunc_ReduceScatter_RING_LL_SumPostDiv_u8_0_0_2v: ; @_Z53ncclDevFunc_ReduceScatter_RING_LL_SumPostDiv_u8_0_0_2v
; %bb.0:
	s_waitcnt vmcnt(0) expcnt(0) lgkmcnt(0)
	s_mov_b32 s0, s33
	s_mov_b32 s33, s32
	s_or_saveexec_b64 s[2:3], -1
	scratch_store_dword off, v42, s33 offset:12 ; 4-byte Folded Spill
	s_mov_b64 exec, s[2:3]
	v_writelane_b32 v42, s0, 8
	s_add_i32 s32, s32, 32
	scratch_store_dword off, v40, s33 offset:8 ; 4-byte Folded Spill
	scratch_store_dword off, v41, s33 offset:4 ; 4-byte Folded Spill
	scratch_store_dword off, v74, s33       ; 4-byte Folded Spill
	v_writelane_b32 v42, s34, 0
	v_writelane_b32 v42, s35, 1
	;; [unrolled: 1-line block ×7, first 2 shown]
	s_nop 1
	v_writelane_b32 v42, s31, 7
	s_trap 2
	ds_read_b32 v0, v0
	v_and_b32_e32 v40, 0x3ff, v31
	s_mov_b32 s36, s12
	s_mov_b64 s[34:35], s[8:9]
	s_waitcnt lgkmcnt(0)
	v_cmp_lt_i32_e32 vcc, v40, v0
	s_and_saveexec_b64 s[0:1], vcc
	s_cbranch_execz .LBB3_5
; %bb.1:
	s_load_dword s2, s[34:35], 0x0
	v_mov_b32_e32 v1, 0
	v_mov_b32_e32 v4, v40
                                        ; implicit-def: $vgpr2
	s_waitcnt lgkmcnt(0)
	s_cmp_lt_u32 s36, s2
	s_cselect_b32 s2, 12, 18
	s_add_u32 s2, s34, s2
	s_addc_u32 s3, s35, 0
	global_load_ushort v1, v1, s[2:3]
	s_trap 2
	ds_read_b32 v3, v0
	s_mov_b64 s[2:3], 0
	s_waitcnt vmcnt(0) lgkmcnt(0)
	v_mul_lo_u32 v3, v3, v1
	s_branch .LBB3_3
.LBB3_2:                                ;   in Loop: Header=BB3_3 Depth=1
	s_or_b64 exec, exec, s[4:5]
	v_add_u32_e32 v4, v4, v1
	v_cmp_ge_i32_e32 vcc, v4, v0
	s_or_b64 s[2:3], vcc, s[2:3]
	v_add_u32_e32 v2, v2, v3
	s_andn2_b64 exec, exec, s[2:3]
	s_cbranch_execz .LBB3_5
.LBB3_3:                                ; =>This Inner Loop Header: Depth=1
	ds_read_b32 v5, v2
	s_waitcnt lgkmcnt(0)
	v_and_b32_e32 v5, 0x1000000, v5
	v_cmp_ne_u32_e32 vcc, 0, v5
	s_and_saveexec_b64 s[4:5], vcc
	s_cbranch_execz .LBB3_2
; %bb.4:                                ;   in Loop: Header=BB3_3 Depth=1
	ds_read_b64 v[6:7], v2 offset:104
	s_waitcnt lgkmcnt(0)
	flat_load_dwordx2 v[6:7], v[6:7]
	s_waitcnt vmcnt(0) lgkmcnt(0)
	ds_write_b64 v2, v[6:7] offset:104
	s_branch .LBB3_2
.LBB3_5:
	s_or_b64 exec, exec, s[0:1]
	s_waitcnt lgkmcnt(0)
	s_barrier
	s_trap 2
	ds_read_b32 v0, v0
	s_waitcnt lgkmcnt(0)
	v_cmp_gt_i32_e32 vcc, 1, v0
	s_cbranch_vccnz .LBB3_13
; %bb.6:
	s_mov_b32 s37, 0
	v_mov_b32_e32 v41, 6
	s_branch .LBB3_8
.LBB3_7:                                ;   in Loop: Header=BB3_8 Depth=1
	s_or_b64 exec, exec, s[38:39]
	s_trap 2
	ds_read_b32 v0, v0
	s_add_i32 s37, s37, 1
	s_waitcnt lgkmcnt(0)
	v_cmp_lt_i32_e32 vcc, s37, v0
	s_cbranch_vccz .LBB3_13
.LBB3_8:                                ; =>This Inner Loop Header: Depth=1
	s_trap 2
	ds_read_b32 v0, v0
	s_cmp_eq_u32 s37, 0
	s_cbranch_scc1 .LBB3_11
; %bb.9:                                ;   in Loop: Header=BB3_8 Depth=1
	s_trap 2
	s_waitcnt lgkmcnt(0)
	ds_read_b32 v1, v0
	s_waitcnt lgkmcnt(0)
	v_xor_b32_e32 v1, v1, v0
	v_and_b32_e32 v1, 0xff0000, v1
	v_cmp_eq_u32_e32 vcc, 0, v1
	s_cbranch_vccnz .LBB3_11
; %bb.10:                               ;   in Loop: Header=BB3_8 Depth=1
	s_barrier
	ds_read_b32 v0, v0
.LBB3_11:                               ;   in Loop: Header=BB3_8 Depth=1
	s_waitcnt lgkmcnt(0)
	v_lshlrev_b32_sdwa v1, v41, v0 dst_sel:DWORD dst_unused:UNUSED_PAD src0_sel:DWORD src1_sel:BYTE_2
	v_cmp_lt_u32_e32 vcc, v40, v1
	s_and_saveexec_b64 s[38:39], vcc
	s_cbranch_execz .LBB3_7
; %bb.12:                               ;   in Loop: Header=BB3_8 Depth=1
	s_mov_b64 s[0:1], src_shared_base
	s_getpc_b64 s[2:3]
	s_add_u32 s2, s2, _ZN12_GLOBAL__N_17runRingIh14FuncSumPostDivIhE7ProtoLLLi0ELi2ELi0EEEviiP15ncclDevWorkColl@rel32@lo+4
	s_addc_u32 s3, s3, _ZN12_GLOBAL__N_17runRingIh14FuncSumPostDivIhE7ProtoLLLi0ELi2ELi0EEEviiP15ncclDevWorkColl@rel32@hi+12
	s_mov_b64 s[8:9], s[34:35]
	s_mov_b32 s12, s36
	v_mov_b32_e32 v0, v40
	v_mov_b32_e32 v3, s1
	s_swappc_b64 s[30:31], s[2:3]
	s_branch .LBB3_7
.LBB3_13:
	scratch_load_dword v74, off, s33        ; 4-byte Folded Reload
	scratch_load_dword v41, off, s33 offset:4 ; 4-byte Folded Reload
	scratch_load_dword v40, off, s33 offset:8 ; 4-byte Folded Reload
	v_readlane_b32 s30, v42, 6
	v_readlane_b32 s31, v42, 7
	;; [unrolled: 1-line block ×8, first 2 shown]
	s_mov_b32 s32, s33
	v_readlane_b32 s0, v42, 8
	s_or_saveexec_b64 s[2:3], -1
	scratch_load_dword v42, off, s33 offset:12 ; 4-byte Folded Reload
	s_mov_b64 exec, s[2:3]
	s_mov_b32 s33, s0
	s_waitcnt vmcnt(0)
	s_setpc_b64 s[30:31]
.Lfunc_end3:
	.size	_Z53ncclDevFunc_ReduceScatter_RING_LL_SumPostDiv_u8_0_0_2v, .Lfunc_end3-_Z53ncclDevFunc_ReduceScatter_RING_LL_SumPostDiv_u8_0_0_2v
                                        ; -- End function
	.set .L_Z53ncclDevFunc_ReduceScatter_RING_LL_SumPostDiv_u8_0_0_2v.num_vgpr, max(75, .L_ZN12_GLOBAL__N_17runRingIh14FuncSumPostDivIhE7ProtoLLLi0ELi2ELi0EEEviiP15ncclDevWorkColl.num_vgpr)
	.set .L_Z53ncclDevFunc_ReduceScatter_RING_LL_SumPostDiv_u8_0_0_2v.num_agpr, max(0, .L_ZN12_GLOBAL__N_17runRingIh14FuncSumPostDivIhE7ProtoLLLi0ELi2ELi0EEEviiP15ncclDevWorkColl.num_agpr)
	.set .L_Z53ncclDevFunc_ReduceScatter_RING_LL_SumPostDiv_u8_0_0_2v.numbered_sgpr, max(40, .L_ZN12_GLOBAL__N_17runRingIh14FuncSumPostDivIhE7ProtoLLLi0ELi2ELi0EEEviiP15ncclDevWorkColl.numbered_sgpr)
	.set .L_Z53ncclDevFunc_ReduceScatter_RING_LL_SumPostDiv_u8_0_0_2v.num_named_barrier, max(0, .L_ZN12_GLOBAL__N_17runRingIh14FuncSumPostDivIhE7ProtoLLLi0ELi2ELi0EEEviiP15ncclDevWorkColl.num_named_barrier)
	.set .L_Z53ncclDevFunc_ReduceScatter_RING_LL_SumPostDiv_u8_0_0_2v.private_seg_size, 32+max(.L_ZN12_GLOBAL__N_17runRingIh14FuncSumPostDivIhE7ProtoLLLi0ELi2ELi0EEEviiP15ncclDevWorkColl.private_seg_size)
	.set .L_Z53ncclDevFunc_ReduceScatter_RING_LL_SumPostDiv_u8_0_0_2v.uses_vcc, or(1, .L_ZN12_GLOBAL__N_17runRingIh14FuncSumPostDivIhE7ProtoLLLi0ELi2ELi0EEEviiP15ncclDevWorkColl.uses_vcc)
	.set .L_Z53ncclDevFunc_ReduceScatter_RING_LL_SumPostDiv_u8_0_0_2v.uses_flat_scratch, or(0, .L_ZN12_GLOBAL__N_17runRingIh14FuncSumPostDivIhE7ProtoLLLi0ELi2ELi0EEEviiP15ncclDevWorkColl.uses_flat_scratch)
	.set .L_Z53ncclDevFunc_ReduceScatter_RING_LL_SumPostDiv_u8_0_0_2v.has_dyn_sized_stack, or(0, .L_ZN12_GLOBAL__N_17runRingIh14FuncSumPostDivIhE7ProtoLLLi0ELi2ELi0EEEviiP15ncclDevWorkColl.has_dyn_sized_stack)
	.set .L_Z53ncclDevFunc_ReduceScatter_RING_LL_SumPostDiv_u8_0_0_2v.has_recursion, or(1, .L_ZN12_GLOBAL__N_17runRingIh14FuncSumPostDivIhE7ProtoLLLi0ELi2ELi0EEEviiP15ncclDevWorkColl.has_recursion)
	.set .L_Z53ncclDevFunc_ReduceScatter_RING_LL_SumPostDiv_u8_0_0_2v.has_indirect_call, or(0, .L_ZN12_GLOBAL__N_17runRingIh14FuncSumPostDivIhE7ProtoLLLi0ELi2ELi0EEEviiP15ncclDevWorkColl.has_indirect_call)
	.section	.AMDGPU.csdata,"",@progbits
; Function info:
; codeLenInByte = 700
; TotalNumSgprs: 102
; NumVgprs: 120
; NumAgprs: 0
; TotalNumVgprs: 120
; ScratchSize: 112
; MemoryBound: 0
	.text
	.p2align	2                               ; -- Begin function _ZN12_GLOBAL__N_17runRingIh14FuncSumPostDivIhE7ProtoLLLi0ELi4ELi0EEEviiP15ncclDevWorkColl
	.type	_ZN12_GLOBAL__N_17runRingIh14FuncSumPostDivIhE7ProtoLLLi0ELi4ELi0EEEviiP15ncclDevWorkColl,@function
_ZN12_GLOBAL__N_17runRingIh14FuncSumPostDivIhE7ProtoLLLi0ELi4ELi0EEEviiP15ncclDevWorkColl: ; @_ZN12_GLOBAL__N_17runRingIh14FuncSumPostDivIhE7ProtoLLLi0ELi4ELi0EEEviiP15ncclDevWorkColl
; %bb.0:
	s_waitcnt vmcnt(0) expcnt(0) lgkmcnt(0)
	s_or_saveexec_b64 s[0:1], -1
	scratch_store_dword off, v74, s32 offset:72 ; 4-byte Folded Spill
	s_mov_b64 exec, s[0:1]
	scratch_store_dword off, v40, s32 offset:68 ; 4-byte Folded Spill
	scratch_store_dword off, v41, s32 offset:64 ; 4-byte Folded Spill
	;; [unrolled: 1-line block ×17, first 2 shown]
	scratch_store_dword off, v73, s32       ; 4-byte Folded Spill
	v_writelane_b32 v74, s30, 0
	s_nop 1
	v_writelane_b32 v74, s31, 1
	s_trap 2
	flat_load_dword v9, v[2:3]
	flat_load_dwordx4 v[4:7], v[2:3] offset:72
	flat_load_dwordx2 v[18:19], v[2:3] offset:88
	s_movk_i32 s0, 0xff
	v_mov_b32_e32 v20, v1
	ds_read_b32 v1, v0
	ds_read_b64 v[22:23], v0
                                        ; implicit-def: $vgpr64_vgpr65
                                        ; implicit-def: $vgpr24_vgpr25
	s_waitcnt lgkmcnt(0)
	v_readfirstlane_b32 s18, v1
	s_waitcnt vmcnt(0)
	v_bitop3_b32 v8, v9, s0, v9 bitop3:0x3f
	v_add_u32_sdwa v10, v9, v8 dst_sel:DWORD dst_unused:UNUSED_PAD src0_sel:BYTE_1 src1_sel:DWORD
	v_ashrrev_i32_e32 v11, 31, v10
	v_mul_lo_u32 v12, v7, v10
	v_mad_u64_u32 v[68:69], s[0:1], v6, v10, 0
	v_mul_lo_u32 v10, v6, v11
	v_add3_u32 v69, v69, v10, v12
	v_cmp_ne_u32_sdwa s[0:1], v1, v9 src0_sel:DWORD src1_sel:BYTE_0
	s_and_saveexec_b64 s[2:3], s[0:1]
	s_xor_b64 s[0:1], exec, s[2:3]
	s_cbranch_execz .LBB4_6
; %bb.1:
	v_cmp_ne_u32_sdwa s[2:3], v1, v9 src0_sel:DWORD src1_sel:BYTE_1
                                        ; implicit-def: $vgpr64_vgpr65
                                        ; implicit-def: $vgpr24_vgpr25
	s_and_saveexec_b64 s[4:5], s[2:3]
	s_xor_b64 s[2:3], exec, s[4:5]
	s_cbranch_execz .LBB4_3
; %bb.2:
	flat_load_dwordx2 v[10:11], v[2:3] offset:96
	v_add_u32_e32 v1, v1, v8
	v_ashrrev_i32_e32 v8, 31, v1
	v_mul_lo_u32 v8, v6, v8
	v_mul_lo_u32 v9, v7, v1
	v_mad_u64_u32 v[24:25], s[4:5], v6, v1, v[4:5]
	v_add3_u32 v25, v9, v25, v8
	s_waitcnt vmcnt(0) lgkmcnt(0)
	v_lshrrev_b64 v[64:65], 17, v[10:11]
.LBB4_3:
	s_andn2_saveexec_b64 s[2:3], s[2:3]
	s_cbranch_execz .LBB4_5
; %bb.4:
	flat_load_dword v1, v[2:3] offset:100
	v_lshl_add_u64 v[24:25], v[68:69], 0, v[4:5]
	v_mov_b64_e32 v[6:7], v[18:19]
	s_waitcnt vmcnt(0) lgkmcnt(0)
	v_lshrrev_b32_e32 v64, 6, v1
.LBB4_5:
	s_or_b64 exec, exec, s[2:3]
.LBB4_6:
	s_andn2_saveexec_b64 s[0:1], s[0:1]
	s_cbranch_execz .LBB4_8
; %bb.7:
	flat_load_dwordx2 v[6:7], v[2:3] offset:96
	v_mov_b64_e32 v[24:25], 0
	s_waitcnt vmcnt(0) lgkmcnt(0)
	v_lshlrev_b64 v[64:65], 4, v[6:7]
	v_mov_b64_e32 v[6:7], v[4:5]
.LBB4_8:
	s_or_b64 exec, exec, s[0:1]
	s_load_dword s0, s[8:9], 0x0
	flat_load_dword v1, v[2:3] offset:104
	flat_load_ushort v13, v[2:3] offset:8
	flat_load_dword v12, v[2:3] offset:4
	flat_load_dwordx4 v[8:11], v[2:3] offset:16
	v_mov_b32_e32 v3, 0
	v_and_b32_e32 v14, 63, v0
	s_mov_b32 s2, 0
	s_waitcnt lgkmcnt(0)
	s_cmp_lt_u32 s12, s0
	s_cselect_b32 s0, 12, 18
	s_add_u32 s0, s8, s0
	s_addc_u32 s1, s9, 0
	global_load_ushort v44, v3, s[0:1]
	s_trap 2
	ds_read_b32 v2, v0
	v_mov_b64_e32 v[26:27], 0
	v_cmp_eq_u32_e64 s[0:1], 0, v14
	s_waitcnt lgkmcnt(0)
	v_cmp_gt_i32_e32 vcc, 0, v2
	v_readfirstlane_b32 s4, v2
	s_waitcnt vmcnt(0)
	v_lshrrev_b64 v[12:13], 31, v[12:13]
	v_and_b32_e32 v15, 3, v12
	s_cbranch_vccnz .LBB4_10
; %bb.9:
	s_trap 2
	ds_read_b64 v[12:13], v0
	v_lshlrev_b64 v[2:3], 3, v[2:3]
	s_movk_i32 s2, 0xa8
	s_waitcnt lgkmcnt(0)
	v_lshl_add_u64 v[2:3], v[12:13], 0, v[2:3]
	flat_load_dwordx2 v[2:3], v[2:3]
	v_and_b32_e32 v12, 0xffff, v15
	s_waitcnt vmcnt(0) lgkmcnt(0)
	v_mad_u64_u32 v[2:3], s[2:3], v12, s2, v[2:3]
	flat_load_dwordx2 v[32:33], v[2:3] offset:504
	flat_load_dwordx2 v[34:35], v[2:3] offset:608
	s_mov_b64 s[2:3], 0x1f8
	v_lshl_add_u64 v[28:29], v[2:3], 0, s[2:3]
	v_cndmask_b32_e64 v3, 0, v29, s[0:1]
	v_cndmask_b32_e64 v2, 0, v28, s[0:1]
	s_mov_b32 s2, 1
	s_branch .LBB4_11
.LBB4_10:
	v_mov_b64_e32 v[28:29], 0
                                        ; implicit-def: $vgpr34_vgpr35
                                        ; implicit-def: $vgpr32_vgpr33
	v_mov_b64_e32 v[2:3], 0
.LBB4_11:
	s_trap 2
	ds_read_b32 v12, v0
	s_waitcnt lgkmcnt(0)
	v_cmp_gt_i32_e32 vcc, 0, v12
	s_cbranch_vccnz .LBB4_13
; %bb.12:
	s_trap 2
	ds_read_b64 v[16:17], v0
	v_mov_b32_e32 v13, 0
	v_lshlrev_b64 v[12:13], 3, v[12:13]
	v_and_b32_e32 v15, 0xffff, v15
	s_movk_i32 s0, 0xa8
	s_waitcnt lgkmcnt(0)
	v_lshl_add_u64 v[12:13], v[16:17], 0, v[12:13]
	flat_load_dwordx2 v[12:13], v[12:13]
	v_cmp_eq_u32_e32 vcc, 0, v14
	s_waitcnt vmcnt(0) lgkmcnt(0)
	v_mad_u64_u32 v[26:27], s[0:1], v15, s0, v[12:13]
	flat_load_dwordx2 v[36:37], v[26:27]
	flat_load_dwordx2 v[16:17], v[26:27] offset:104
	v_cndmask_b32_e32 v55, 0, v27, vcc
	v_cndmask_b32_e32 v54, 0, v26, vcc
	s_branch .LBB4_14
.LBB4_13:
                                        ; implicit-def: $vgpr16_vgpr17
                                        ; implicit-def: $vgpr36_vgpr37
	v_mov_b64_e32 v[54:55], 0
.LBB4_14:
	v_subrev_u32_e32 v12, 64, v20
	v_cmp_ge_i32_e32 vcc, v0, v12
	v_cmp_gt_u32_e64 s[0:1], s2, v14
	s_and_b64 s[20:21], vcc, s[0:1]
	v_mov_b64_e32 v[12:13], 0
	v_mov_b64_e32 v[48:49], 0
                                        ; implicit-def: $vgpr38_vgpr39
	s_and_saveexec_b64 s[0:1], s[20:21]
	s_cbranch_execz .LBB4_16
; %bb.15:
	flat_load_dwordx2 v[48:49], v[2:3] offset:56
	flat_load_dwordx2 v[38:39], v[2:3] offset:104
.LBB4_16:
	s_or_b64 exec, exec, s[0:1]
	v_cmp_gt_u32_e64 s[0:1], s2, v0
	v_mov_b64_e32 v[50:51], 0
                                        ; implicit-def: $vgpr52_vgpr53
	s_and_saveexec_b64 s[2:3], s[0:1]
	s_cbranch_execz .LBB4_18
; %bb.17:
	flat_load_dwordx2 v[50:51], v[54:55] offset:56
	s_waitcnt vmcnt(0) lgkmcnt(0)
	flat_load_dwordx2 v[52:53], v[50:51] sc0 sc1
	s_waitcnt vmcnt(0)
	flat_load_dwordx4 v[12:15], v[54:55] offset:96
.LBB4_18:
	s_or_b64 exec, exec, s[2:3]
	v_mov_b64_e32 v[54:55], 0
	v_cmp_ne_u64_e32 vcc, 0, v[6:7]
	s_and_saveexec_b64 s[22:23], vcc
	s_cbranch_execnz .LBB4_22
; %bb.19:
	s_or_b64 exec, exec, s[22:23]
	s_and_saveexec_b64 s[2:3], s[20:21]
	s_cbranch_execnz .LBB4_212
.LBB4_20:
	s_or_b64 exec, exec, s[2:3]
	s_and_saveexec_b64 s[2:3], s[0:1]
	s_cbranch_execnz .LBB4_213
.LBB4_21:
	s_or_b64 exec, exec, s[2:3]
	v_cmp_ne_u32_e32 vcc, 64, v20
	s_and_saveexec_b64 s[0:1], vcc
	s_cbranch_execnz .LBB4_214
	s_branch .LBB4_231
.LBB4_22:
	v_alignbit_b32 v45, v1, v1, 1
	v_and_b32_e32 v46, 0x7fffffff, v45
	v_cvt_f32_u32_e32 v1, v46
	v_sub_u32_e32 v2, 0, v46
	s_ashr_i32 s19, s18, 31
	v_mov_b32_e32 v67, 0
	v_rcp_iflag_f32_e32 v1, v1
	v_lshlrev_b32_e32 v82, 3, v0
	v_mov_b32_e32 v83, v67
	v_mov_b32_e32 v21, v67
	v_mul_f32_e32 v1, 0x4f7ffffe, v1
	v_cvt_u32_f32_e32 v1, v1
	v_and_b32_e32 v64, 0x1fffff0, v64
	s_mov_b32 s25, 0
	v_mov_b32_e32 v65, v67
	v_mul_lo_u32 v2, v2, v1
	v_mul_hi_u32 v2, v1, v2
	v_add_u32_e32 v1, v1, v2
	v_mad_u64_u32 v[2:3], s[2:3], v1, -1, 0
	v_mul_lo_u32 v1, v3, v46
	v_not_b32_e32 v1, v1
	v_add_u32_e32 v2, 1, v3
	v_cmp_ge_u32_e32 vcc, v1, v46
	s_ashr_i32 s2, s4, 31
	s_lshr_b32 s2, s2, 29
	v_cndmask_b32_e32 v2, v3, v2, vcc
	v_sub_u32_e32 v3, v1, v46
	v_cndmask_b32_e32 v1, v1, v3, vcc
	v_add_u32_e32 v3, 1, v2
	v_cmp_ge_u32_e32 vcc, v1, v46
	s_add_i32 s4, s4, s2
	s_ashr_i32 s6, s4, 3
	v_cndmask_b32_e32 v30, v2, v3, vcc
	v_lshl_add_u64 v[2:3], v[18:19], 0, v[4:5]
	s_lshl_b64 s[2:3], s[18:19], 2
	s_ashr_i32 s90, s4, 7
	v_lshl_add_u64 v[68:69], v[2:3], 0, v[68:69]
	v_lshl_add_u64 v[2:3], v[22:23], 0, s[2:3]
	s_and_b32 s19, s6, -16
	v_and_b32_e32 v1, 63, v31
	v_lshl_add_u64 v[70:71], v[2:3], 0, -4
	v_cmp_eq_u32_e64 s[8:9], 0, v1
	s_cmp_gt_i32 s18, 2
	v_lshl_add_u64 v[2:3], v[24:25], 0, v[10:11]
	v_mov_b32_e32 v1, v67
	s_mov_b64 s[26:27], 0
	v_cmp_ne_u64_e64 s[2:3], 0, v[50:51]
	s_waitcnt vmcnt(0) lgkmcnt(0)
	v_cmp_ne_u64_e64 s[4:5], 0, v[12:13]
	v_cmp_ne_u32_e64 s[6:7], 64, v20
	v_cmp_ne_u32_sdwa s[28:29], v20, v44 src0_sel:DWORD src1_sel:WORD_0
	v_lshrrev_b32_e32 v80, 6, v20
	v_mov_b32_e32 v81, v67
	v_lshlrev_b32_e32 v84, 3, v20
	v_mov_b32_e32 v85, v67
	s_cselect_b64 s[40:41], -1, 0
	v_lshl_add_u64 v[86:87], v[10:11], 0, v[82:83]
	v_cmp_ne_u64_e64 s[10:11], 0, v[48:49]
	v_lshl_add_u64 v[8:9], v[8:9], 0, v[82:83]
	v_cmp_gt_i32_e64 s[12:13], 0, v45
	v_lshl_add_u64 v[96:97], v[2:3], 0, v[82:83]
	v_lshlrev_b32_e32 v47, 6, v20
	v_lshl_add_u64 v[98:99], v[0:1], 4, v[36:37]
	v_lshlrev_b64 v[100:101], 4, v[20:21]
	v_mov_b64_e32 v[102:103], 0
	s_mov_b64 s[42:43], 0x7ffffff8
	v_mov_b32_e32 v1, 1
	s_mov_b32 s91, 0x7020500
	s_mov_b32 s92, 0x6050400
	;; [unrolled: 1-line block ×5, first 2 shown]
	v_mov_b32_e32 v21, 0
	v_mov_b64_e32 v[54:55], 0
	s_branch .LBB4_24
.LBB4_23:                               ;   in Loop: Header=BB4_24 Depth=1
	s_or_b64 exec, exec, s[14:15]
	v_lshl_add_u64 v[102:103], v[102:103], 0, v[64:65]
	v_cmp_ge_u64_e32 vcc, v[102:103], v[6:7]
	v_lshl_add_u64 v[34:35], v[34:35], 0, 1
	s_or_b64 s[26:27], vcc, s[26:27]
	v_lshl_add_u64 v[96:97], v[96:97], 0, v[64:65]
	s_andn2_b64 exec, exec, s[26:27]
	s_cbranch_execz .LBB4_211
.LBB4_24:                               ; =>This Loop Header: Depth=1
                                        ;     Child Loop BB4_29 Depth 2
                                        ;     Child Loop BB4_48 Depth 2
	;; [unrolled: 1-line block ×5, first 2 shown]
                                        ;       Child Loop BB4_78 Depth 3
                                        ;       Child Loop BB4_97 Depth 3
	;; [unrolled: 1-line block ×3, first 2 shown]
                                        ;         Child Loop BB4_127 Depth 4
                                        ;       Child Loop BB4_141 Depth 3
                                        ;       Child Loop BB4_114 Depth 3
                                        ;     Child Loop BB4_157 Depth 2
                                        ;       Child Loop BB4_165 Depth 3
                                        ;     Child Loop BB4_199 Depth 2
	s_waitcnt vmcnt(0) lgkmcnt(0)
	flat_load_dword v4, v[70:71]
	v_sub_co_u32_e32 v2, vcc, v6, v102
	s_nop 1
	v_subb_co_u32_e32 v3, vcc, v7, v103, vcc
	v_cmp_lt_u64_e32 vcc, v[64:65], v[2:3]
	s_nop 1
	v_cndmask_b32_e32 v5, v2, v64, vcc
	v_lshl_add_u32 v2, v5, 1, 14
	v_and_b32_e32 v57, 0x7fffff0, v2
	s_and_saveexec_b64 s[16:17], s[2:3]
	s_cbranch_execz .LBB4_40
; %bb.25:                               ;   in Loop: Header=BB4_24 Depth=1
	v_lshl_add_u64 v[2:3], v[14:15], 0, 1
	v_lshl_add_u64 v[18:19], v[52:53], 0, 8
	v_cmp_lt_u64_e32 vcc, v[18:19], v[2:3]
	s_and_saveexec_b64 s[44:45], vcc
	s_cbranch_execz .LBB4_37
; %bb.26:                               ;   in Loop: Header=BB4_24 Depth=1
	s_mov_b32 s24, 0
	v_cmp_eq_u32_e32 vcc, 0, v21
	s_mov_b64 s[46:47], 0
                                        ; implicit-def: $sgpr56_sgpr57
                                        ; implicit-def: $sgpr58_sgpr59
                                        ; implicit-def: $sgpr60_sgpr61
	s_branch .LBB4_29
.LBB4_27:                               ;   in Loop: Header=BB4_29 Depth=2
	s_or_b64 exec, exec, s[78:79]
	s_andn2_b64 s[14:15], s[60:61], exec
	s_and_b64 s[60:61], s[74:75], exec
	s_or_b64 s[60:61], s[14:15], s[60:61]
	s_andn2_b64 s[14:15], s[58:59], exec
	s_and_b64 s[58:59], s[72:73], exec
	s_or_b64 s[58:59], s[14:15], s[58:59]
.LBB4_28:                               ;   in Loop: Header=BB4_29 Depth=2
	s_or_b64 exec, exec, s[62:63]
	s_and_b64 s[14:15], exec, s[58:59]
	s_or_b64 s[46:47], s[14:15], s[46:47]
	s_andn2_b64 s[14:15], s[56:57], exec
	s_and_b64 s[56:57], s[60:61], exec
	s_or_b64 s[56:57], s[14:15], s[56:57]
	s_andn2_b64 exec, exec, s[46:47]
	s_cbranch_execz .LBB4_34
.LBB4_29:                               ;   Parent Loop BB4_24 Depth=1
                                        ; =>  This Inner Loop Header: Depth=2
	s_sleep 1
	s_waitcnt vmcnt(0) lgkmcnt(0)
	flat_load_dwordx2 v[52:53], v[50:51] sc1
	v_mov_b32_e32 v21, 1
	s_or_b64 s[60:61], s[60:61], exec
	s_or_b64 s[58:59], s[58:59], exec
                                        ; implicit-def: $vgpr15
	s_and_saveexec_b64 s[62:63], vcc
	s_cbranch_execz .LBB4_28
; %bb.30:                               ;   in Loop: Header=BB4_29 Depth=2
	s_add_i32 s24, s24, 1
	s_cmpk_lg_i32 s24, 0x2710
	s_cselect_b64 s[76:77], -1, 0
	s_cmpk_eq_i32 s24, 0x2710
	s_mov_b64 s[72:73], -1
	s_mov_b64 s[74:75], -1
                                        ; implicit-def: $vgpr15
	s_cbranch_scc1 .LBB4_32
; %bb.31:                               ;   in Loop: Header=BB4_29 Depth=2
	v_mov_b32_e32 v21, 1
	s_and_saveexec_b64 s[78:79], s[76:77]
	s_cbranch_execz .LBB4_27
	s_branch .LBB4_33
.LBB4_32:                               ;   in Loop: Header=BB4_29 Depth=2
	s_trap 2
	ds_read_b64 v[18:19], v0
	s_andn2_b64 s[76:77], s[76:77], exec
	s_mov_b32 s24, 0
	s_mov_b64 s[74:75], 0
	s_waitcnt vmcnt(0) lgkmcnt(0)
	flat_load_dword v15, v[18:19] sc0 sc1
	s_waitcnt vmcnt(0) lgkmcnt(0)
	buffer_inv sc0 sc1
	v_cmp_eq_u32_e64 s[14:15], 0, v15
	s_and_b64 s[14:15], s[14:15], exec
	s_or_b64 s[76:77], s[76:77], s[14:15]
	v_mov_b32_e32 v21, 1
	s_and_saveexec_b64 s[78:79], s[76:77]
	s_cbranch_execz .LBB4_27
.LBB4_33:                               ;   in Loop: Header=BB4_29 Depth=2
	s_waitcnt vmcnt(0) lgkmcnt(0)
	v_lshl_add_u64 v[18:19], v[52:53], 0, 8
	v_cmp_ge_u64_e64 s[14:15], v[18:19], v[2:3]
	v_mov_b32_e32 v21, 0
	s_or_b64 s[74:75], s[74:75], exec
	s_orn2_b64 s[72:73], s[14:15], exec
	s_branch .LBB4_27
.LBB4_34:                               ;   in Loop: Header=BB4_24 Depth=1
	s_or_b64 exec, exec, s[46:47]
	s_xor_b64 s[14:15], s[56:57], -1
	s_and_saveexec_b64 s[46:47], s[14:15]
	s_xor_b64 s[14:15], exec, s[46:47]
	s_cbranch_execz .LBB4_36
; %bb.35:                               ;   in Loop: Header=BB4_24 Depth=1
	v_mov_b32_e32 v21, 1
	s_waitcnt lgkmcnt(0)
	ds_write_b32 v0, v15
	s_trap 2
.LBB4_36:                               ;   in Loop: Header=BB4_24 Depth=1
	s_or_b64 exec, exec, s[14:15]
.LBB4_37:                               ;   in Loop: Header=BB4_24 Depth=1
	s_or_b64 exec, exec, s[44:45]
	s_and_saveexec_b64 s[14:15], s[4:5]
	s_cbranch_execz .LBB4_39
; %bb.38:                               ;   in Loop: Header=BB4_24 Depth=1
	v_and_b32_e32 v66, 0x7ffffff8, v14
	v_mov_b32_e32 v15, s19
	v_cmp_eq_u64_e32 vcc, s[42:43], v[66:67]
	v_and_b32_e32 v14, 7, v14
	s_nop 0
	v_cndmask_b32_e32 v18, v57, v15, vcc
	v_ashrrev_i32_e32 v19, 31, v18
	v_mad_u64_u32 v[14:15], s[44:45], v14, 24, v[12:13]
	flat_store_dwordx2 v[14:15], v[18:19] offset:8 sc0 sc1
	s_waitcnt vmcnt(0)
.LBB4_39:                               ;   in Loop: Header=BB4_24 Depth=1
	s_or_b64 exec, exec, s[14:15]
	v_mov_b64_e32 v[14:15], v[2:3]
.LBB4_40:                               ;   in Loop: Header=BB4_24 Depth=1
	s_or_b64 exec, exec, s[16:17]
	s_and_saveexec_b64 s[14:15], s[6:7]
	s_cbranch_execz .LBB4_59
; %bb.41:                               ;   in Loop: Header=BB4_24 Depth=1
	s_and_saveexec_b64 s[16:17], s[28:29]
	s_xor_b64 s[16:17], exec, s[16:17]
	s_cbranch_execz .LBB4_56
; %bb.42:                               ;   in Loop: Header=BB4_24 Depth=1
	s_and_saveexec_b64 s[44:45], s[8:9]
	s_cbranch_execz .LBB4_55
; %bb.43:                               ;   in Loop: Header=BB4_24 Depth=1
	s_mov_b64 s[56:57], exec
	v_mbcnt_lo_u32_b32 v2, s56, 0
	v_mbcnt_hi_u32_b32 v2, s57, v2
	v_cmp_eq_u32_e32 vcc, 0, v2
	buffer_wbl2 sc1
	s_waitcnt vmcnt(0) lgkmcnt(0)
	buffer_inv sc1
	s_and_saveexec_b64 s[46:47], vcc
	s_cbranch_execz .LBB4_45
; %bb.44:                               ;   in Loop: Header=BB4_24 Depth=1
	s_bcnt1_i32_b64 s24, s[56:57]
	v_mov_b32_e32 v66, s24
	ds_add_u64 v0, v[66:67]
	s_trap 2
.LBB4_45:                               ;   in Loop: Header=BB4_24 Depth=1
	s_or_b64 exec, exec, s[46:47]
	s_trap 2
	ds_read_b64 v[2:3], v0
	s_waitcnt lgkmcnt(0)
	v_lshl_add_u64 v[54:55], v[54:55], 0, v[80:81]
	v_cmp_lt_u64_e32 vcc, v[2:3], v[54:55]
	s_and_saveexec_b64 s[46:47], vcc
	s_cbranch_execz .LBB4_54
; %bb.46:                               ;   in Loop: Header=BB4_24 Depth=1
	s_mov_b32 s24, 0
	s_mov_b64 s[56:57], 0
                                        ; implicit-def: $sgpr58_sgpr59
                                        ; implicit-def: $sgpr60_sgpr61
	s_branch .LBB4_48
.LBB4_47:                               ;   in Loop: Header=BB4_48 Depth=2
	s_or_b64 exec, exec, s[72:73]
	s_and_b64 s[62:63], exec, s[74:75]
	s_or_b64 s[56:57], s[62:63], s[56:57]
	s_andn2_b64 s[58:59], s[58:59], exec
	s_and_b64 s[62:63], s[60:61], exec
	s_or_b64 s[58:59], s[58:59], s[62:63]
	s_andn2_b64 exec, exec, s[56:57]
	s_cbranch_execz .LBB4_52
.LBB4_48:                               ;   Parent Loop BB4_24 Depth=1
                                        ; =>  This Inner Loop Header: Depth=2
	s_add_i32 s24, s24, 1
	s_cmpk_lg_i32 s24, 0x2710
	s_cselect_b64 s[62:63], -1, 0
	s_and_b64 vcc, exec, s[62:63]
	s_cbranch_vccz .LBB4_50
; %bb.49:                               ;   in Loop: Header=BB4_48 Depth=2
	s_mov_b64 s[74:75], -1
	s_or_b64 s[60:61], s[60:61], exec
	s_and_saveexec_b64 s[72:73], s[62:63]
	s_cbranch_execz .LBB4_47
	s_branch .LBB4_51
.LBB4_50:                               ;   in Loop: Header=BB4_48 Depth=2
	s_trap 2
	ds_read_b64 v[2:3], v0
	s_andn2_b64 s[62:63], s[62:63], exec
	s_mov_b32 s24, 0
	s_waitcnt lgkmcnt(0)
	flat_load_dword v2, v[2:3] sc0 sc1
	s_waitcnt vmcnt(0) lgkmcnt(0)
	buffer_inv sc0 sc1
	v_cmp_eq_u32_e32 vcc, 0, v2
	s_and_b64 s[72:73], vcc, exec
	s_or_b64 s[62:63], s[62:63], s[72:73]
	s_mov_b64 s[74:75], -1
	s_or_b64 s[60:61], s[60:61], exec
	s_and_saveexec_b64 s[72:73], s[62:63]
	s_cbranch_execz .LBB4_47
.LBB4_51:                               ;   in Loop: Header=BB4_48 Depth=2
	s_sleep 1
	s_trap 2
	ds_read_b64 v[2:3], v0
	s_waitcnt lgkmcnt(0)
	s_andn2_b64 s[60:61], s[60:61], exec
	v_cmp_ge_u64_e32 vcc, v[2:3], v[54:55]
	s_orn2_b64 s[74:75], vcc, exec
	s_branch .LBB4_47
.LBB4_52:                               ;   in Loop: Header=BB4_24 Depth=1
	s_or_b64 exec, exec, s[56:57]
	s_and_saveexec_b64 s[56:57], s[58:59]
	s_xor_b64 s[56:57], exec, s[56:57]
	s_cbranch_execz .LBB4_54
; %bb.53:                               ;   in Loop: Header=BB4_24 Depth=1
	ds_write_b32 v0, v1
	s_trap 2
.LBB4_54:                               ;   in Loop: Header=BB4_24 Depth=1
	s_or_b64 exec, exec, s[46:47]
	;;#ASMSTART
	s_wakeup
	;;#ASMEND
.LBB4_55:                               ;   in Loop: Header=BB4_24 Depth=1
	s_or_b64 exec, exec, s[44:45]
.LBB4_56:                               ;   in Loop: Header=BB4_24 Depth=1
	s_andn2_saveexec_b64 s[16:17], s[16:17]
	s_cbranch_execz .LBB4_58
; %bb.57:                               ;   in Loop: Header=BB4_24 Depth=1
	buffer_wbl2 sc1
	s_waitcnt vmcnt(0) lgkmcnt(0)
	buffer_inv sc1
	s_barrier
.LBB4_58:                               ;   in Loop: Header=BB4_24 Depth=1
	s_or_b64 exec, exec, s[16:17]
.LBB4_59:                               ;   in Loop: Header=BB4_24 Depth=1
	s_or_b64 exec, exec, s[14:15]
	v_sub_u32_e32 v56, v5, v82
	v_cmp_lt_i32_e64 s[14:15], 0, v56
	v_and_b32_e32 v19, 7, v16
	v_add_u32_e32 v3, 1, v16
	v_mov_b32_e32 v18, v0
	s_and_saveexec_b64 s[16:17], s[14:15]
	s_cbranch_execz .LBB4_67
; %bb.60:                               ;   in Loop: Header=BB4_24 Depth=1
	s_waitcnt vmcnt(0) lgkmcnt(0)
	v_ashrrev_i32_e32 v2, 31, v4
	v_mul_lo_u32 v114, v19, s90
	v_mad_u64_u32 v[112:113], s[44:45], v68, v4, v[96:97]
	v_mul_lo_u32 v5, v69, v4
	v_mul_lo_u32 v2, v68, v2
	v_ashrrev_i32_e32 v115, 31, v114
	v_add3_u32 v113, v5, v113, v2
	v_mul_lo_u32 v2, v68, v4
	v_add_lshl_u32 v116, v96, v2, 3
	v_lshl_add_u64 v[114:115], v[114:115], 4, v[98:99]
	s_mov_b64 s[44:45], 0
	v_mov_b32_e32 v117, v56
	v_mov_b32_e32 v18, v0
	s_branch .LBB4_62
.LBB4_61:                               ;   in Loop: Header=BB4_62 Depth=2
	s_or_b64 exec, exec, s[46:47]
	v_sub_u32_e32 v117, v117, v84
	s_waitcnt vmcnt(0)
	v_alignbit_b32 v2, v119, v2, v116
	v_alignbit_b32 v4, v118, v119, v116
	v_mov_b32_e32 v5, v3
	v_cmp_gt_i32_e32 vcc, 1, v117
	global_store_dwordx4 v[114:115], v[2:5], off
	v_add_u32_e32 v18, v18, v20
	v_lshl_add_u64 v[112:113], v[112:113], 0, v[84:85]
	v_add_u32_e32 v116, v116, v47
	s_or_b64 s[44:45], vcc, s[44:45]
	v_lshl_add_u64 v[114:115], v[114:115], 0, v[100:101]
	buffer_wbl2 sc0 sc1
	s_waitcnt vmcnt(0)
	s_andn2_b64 exec, exec, s[44:45]
	s_cbranch_execz .LBB4_66
.LBB4_62:                               ;   Parent Loop BB4_24 Depth=1
                                        ; =>  This Inner Loop Header: Depth=2
	v_and_b32_e32 v4, -4, v112
	v_mov_b32_e32 v5, v113
	global_load_dword v2, v[4:5], off nt
	v_min_u32_e32 v66, 8, v117
	v_and_b32_e32 v118, 3, v112
	v_add_u32_e32 v66, v118, v66
	v_cmp_lt_u32_e32 vcc, 4, v66
	v_mov_b32_e32 v118, 0
	v_mov_b32_e32 v119, 0
	s_and_saveexec_b64 s[46:47], vcc
	s_cbranch_execz .LBB4_64
; %bb.63:                               ;   in Loop: Header=BB4_62 Depth=2
	global_load_dword v119, v[4:5], off offset:4 nt
.LBB4_64:                               ;   in Loop: Header=BB4_62 Depth=2
	s_or_b64 exec, exec, s[46:47]
	v_cmp_lt_u64_e32 vcc, 8, v[66:67]
	s_and_saveexec_b64 s[46:47], vcc
	s_cbranch_execz .LBB4_61
; %bb.65:                               ;   in Loop: Header=BB4_62 Depth=2
	global_load_dword v118, v[4:5], off offset:8 nt
	s_branch .LBB4_61
.LBB4_66:                               ;   in Loop: Header=BB4_24 Depth=1
	s_or_b64 exec, exec, s[44:45]
.LBB4_67:                               ;   in Loop: Header=BB4_24 Depth=1
	s_or_b64 exec, exec, s[16:17]
	v_and_b32_e32 v66, 0x7ffffff8, v16
	v_cmp_eq_u64_e32 vcc, s[42:43], v[66:67]
	v_cmp_gt_i32_e64 s[16:17], s90, v18
	s_and_b64 s[44:45], vcc, s[16:17]
	s_and_saveexec_b64 s[16:17], s[44:45]
	s_cbranch_execz .LBB4_70
; %bb.68:                               ;   in Loop: Header=BB4_24 Depth=1
	s_waitcnt vmcnt(0) lgkmcnt(0)
	v_mul_lo_u32 v4, v19, s90
	v_ashrrev_i32_e32 v5, 31, v4
	v_ashrrev_i32_e32 v19, 31, v18
	v_lshlrev_b64 v[4:5], 4, v[4:5]
	v_lshl_add_u64 v[4:5], v[18:19], 4, v[4:5]
	v_mov_b32_e32 v2, v67
	v_lshl_add_u64 v[112:113], v[36:37], 0, v[4:5]
	s_mov_b64 s[44:45], 0
.LBB4_69:                               ;   Parent Loop BB4_24 Depth=1
                                        ; =>  This Inner Loop Header: Depth=2
	v_add_u32_e32 v18, v18, v20
	v_mov_b32_e32 v4, v2
	v_mov_b32_e32 v5, v3
	v_cmp_le_i32_e32 vcc, s90, v18
	global_store_dwordx4 v[112:113], v[2:5], off
	s_or_b64 s[44:45], vcc, s[44:45]
	v_lshl_add_u64 v[112:113], v[112:113], 0, v[100:101]
	buffer_wbl2 sc0 sc1
	s_waitcnt vmcnt(0)
	s_andn2_b64 exec, exec, s[44:45]
	s_cbranch_execnz .LBB4_69
.LBB4_70:                               ;   in Loop: Header=BB4_24 Depth=1
	s_or_b64 exec, exec, s[16:17]
	v_lshl_add_u64 v[112:113], v[102:103], 0, v[24:25]
	s_andn2_b64 vcc, exec, s[40:41]
	v_lshl_add_u64 v[114:115], v[16:17], 0, 1
	s_cbranch_vccnz .LBB4_152
; %bb.71:                               ;   in Loop: Header=BB4_24 Depth=1
	v_lshl_add_u64 v[116:117], v[86:87], 0, v[112:113]
	v_add_u16_e32 v58, 1, v16
	s_mov_b32 s30, 2
	s_branch .LBB4_73
.LBB4_72:                               ;   in Loop: Header=BB4_73 Depth=2
	s_or_b64 exec, exec, s[16:17]
	s_add_i32 s30, s30, 1
	v_lshl_add_u64 v[34:35], v[34:35], 0, 1
	v_lshl_add_u64 v[114:115], v[114:115], 0, 1
	s_cmp_eq_u32 s30, s18
	v_add_u16_e32 v58, 1, v58
	s_cbranch_scc1 .LBB4_152
.LBB4_73:                               ;   Parent Loop BB4_24 Depth=1
                                        ; =>  This Loop Header: Depth=2
                                        ;       Child Loop BB4_78 Depth 3
                                        ;       Child Loop BB4_97 Depth 3
	;; [unrolled: 1-line block ×3, first 2 shown]
                                        ;         Child Loop BB4_127 Depth 4
                                        ;       Child Loop BB4_141 Depth 3
                                        ;       Child Loop BB4_114 Depth 3
	s_sub_i32 s24, s18, s30
	s_lshl_b64 s[16:17], s[24:25], 2
	v_lshl_add_u64 v[2:3], v[22:23], 0, s[16:17]
	flat_load_dword v16, v[2:3]
	s_and_saveexec_b64 s[44:45], s[2:3]
	s_cbranch_execz .LBB4_89
; %bb.74:                               ;   in Loop: Header=BB4_73 Depth=2
	v_lshl_add_u64 v[2:3], v[14:15], 0, 1
	s_waitcnt vmcnt(0) lgkmcnt(0)
	v_lshl_add_u64 v[4:5], v[52:53], 0, 8
	v_cmp_lt_u64_e32 vcc, v[4:5], v[2:3]
	s_and_saveexec_b64 s[46:47], vcc
	s_cbranch_execz .LBB4_86
; %bb.75:                               ;   in Loop: Header=BB4_73 Depth=2
	s_mov_b32 s24, 0
	v_cmp_eq_u32_e32 vcc, 0, v21
	s_mov_b64 s[56:57], 0
                                        ; implicit-def: $sgpr58_sgpr59
                                        ; implicit-def: $sgpr60_sgpr61
                                        ; implicit-def: $sgpr62_sgpr63
	s_branch .LBB4_78
.LBB4_76:                               ;   in Loop: Header=BB4_78 Depth=3
	s_or_b64 exec, exec, s[88:89]
	s_andn2_b64 s[16:17], s[62:63], exec
	s_and_b64 s[62:63], s[76:77], exec
	s_or_b64 s[62:63], s[16:17], s[62:63]
	s_andn2_b64 s[16:17], s[60:61], exec
	s_and_b64 s[60:61], s[74:75], exec
	s_or_b64 s[60:61], s[16:17], s[60:61]
.LBB4_77:                               ;   in Loop: Header=BB4_78 Depth=3
	s_or_b64 exec, exec, s[72:73]
	s_and_b64 s[16:17], exec, s[60:61]
	s_or_b64 s[56:57], s[16:17], s[56:57]
	s_andn2_b64 s[16:17], s[58:59], exec
	s_and_b64 s[58:59], s[62:63], exec
	s_or_b64 s[58:59], s[16:17], s[58:59]
	s_andn2_b64 exec, exec, s[56:57]
	s_cbranch_execz .LBB4_83
.LBB4_78:                               ;   Parent Loop BB4_24 Depth=1
                                        ;     Parent Loop BB4_73 Depth=2
                                        ; =>    This Inner Loop Header: Depth=3
	s_sleep 1
	s_waitcnt vmcnt(0) lgkmcnt(0)
	flat_load_dwordx2 v[52:53], v[50:51] sc1
	v_mov_b32_e32 v21, 1
	s_or_b64 s[62:63], s[62:63], exec
	s_or_b64 s[60:61], s[60:61], exec
                                        ; implicit-def: $vgpr4
	s_and_saveexec_b64 s[72:73], vcc
	s_cbranch_execz .LBB4_77
; %bb.79:                               ;   in Loop: Header=BB4_78 Depth=3
	s_add_i32 s24, s24, 1
	s_cmpk_lg_i32 s24, 0x2710
	s_cselect_b64 s[78:79], -1, 0
	s_cmpk_eq_i32 s24, 0x2710
	s_mov_b64 s[74:75], -1
	s_mov_b64 s[76:77], -1
                                        ; implicit-def: $vgpr4
	s_cbranch_scc1 .LBB4_81
; %bb.80:                               ;   in Loop: Header=BB4_78 Depth=3
	v_mov_b32_e32 v21, 1
	s_and_saveexec_b64 s[88:89], s[78:79]
	s_cbranch_execz .LBB4_76
	s_branch .LBB4_82
.LBB4_81:                               ;   in Loop: Header=BB4_78 Depth=3
	s_trap 2
	ds_read_b64 v[4:5], v0
	s_andn2_b64 s[78:79], s[78:79], exec
	s_mov_b32 s24, 0
	s_mov_b64 s[76:77], 0
	s_waitcnt vmcnt(0) lgkmcnt(0)
	flat_load_dword v4, v[4:5] sc0 sc1
	s_waitcnt vmcnt(0) lgkmcnt(0)
	buffer_inv sc0 sc1
	v_cmp_eq_u32_e64 s[16:17], 0, v4
	s_and_b64 s[16:17], s[16:17], exec
	s_or_b64 s[78:79], s[78:79], s[16:17]
	v_mov_b32_e32 v21, 1
	s_and_saveexec_b64 s[88:89], s[78:79]
	s_cbranch_execz .LBB4_76
.LBB4_82:                               ;   in Loop: Header=BB4_78 Depth=3
	s_waitcnt vmcnt(0) lgkmcnt(0)
	v_lshl_add_u64 v[18:19], v[52:53], 0, 8
	v_cmp_ge_u64_e64 s[16:17], v[18:19], v[2:3]
	v_mov_b32_e32 v21, 0
	s_or_b64 s[76:77], s[76:77], exec
	s_orn2_b64 s[74:75], s[16:17], exec
	s_branch .LBB4_76
.LBB4_83:                               ;   in Loop: Header=BB4_73 Depth=2
	s_or_b64 exec, exec, s[56:57]
	s_xor_b64 s[16:17], s[58:59], -1
	s_and_saveexec_b64 s[56:57], s[16:17]
	s_xor_b64 s[16:17], exec, s[56:57]
	s_cbranch_execz .LBB4_85
; %bb.84:                               ;   in Loop: Header=BB4_73 Depth=2
	v_mov_b32_e32 v21, 1
	s_waitcnt lgkmcnt(0)
	ds_write_b32 v0, v4
	s_trap 2
.LBB4_85:                               ;   in Loop: Header=BB4_73 Depth=2
	s_or_b64 exec, exec, s[16:17]
.LBB4_86:                               ;   in Loop: Header=BB4_73 Depth=2
	s_or_b64 exec, exec, s[46:47]
	s_and_saveexec_b64 s[16:17], s[4:5]
	s_cbranch_execz .LBB4_88
; %bb.87:                               ;   in Loop: Header=BB4_73 Depth=2
	v_and_b32_e32 v66, 0x7ffffff8, v14
	v_mov_b32_e32 v4, s19
	v_cmp_eq_u64_e32 vcc, s[42:43], v[66:67]
	v_and_b32_e32 v14, 7, v14
	v_mad_u64_u32 v[14:15], s[46:47], v14, 24, v[12:13]
	v_cndmask_b32_e32 v4, v57, v4, vcc
	v_ashrrev_i32_e32 v5, 31, v4
	flat_store_dwordx2 v[14:15], v[4:5] offset:8 sc0 sc1
	s_waitcnt vmcnt(0)
.LBB4_88:                               ;   in Loop: Header=BB4_73 Depth=2
	s_or_b64 exec, exec, s[16:17]
	v_mov_b64_e32 v[14:15], v[2:3]
.LBB4_89:                               ;   in Loop: Header=BB4_73 Depth=2
	s_or_b64 exec, exec, s[44:45]
	s_and_saveexec_b64 s[16:17], s[6:7]
	s_cbranch_execz .LBB4_108
; %bb.90:                               ;   in Loop: Header=BB4_73 Depth=2
	s_and_saveexec_b64 s[44:45], s[28:29]
	s_xor_b64 s[44:45], exec, s[44:45]
	s_cbranch_execz .LBB4_105
; %bb.91:                               ;   in Loop: Header=BB4_73 Depth=2
	s_and_saveexec_b64 s[46:47], s[8:9]
	s_cbranch_execz .LBB4_104
; %bb.92:                               ;   in Loop: Header=BB4_73 Depth=2
	s_mov_b64 s[58:59], exec
	v_mbcnt_lo_u32_b32 v2, s58, 0
	v_mbcnt_hi_u32_b32 v2, s59, v2
	v_cmp_eq_u32_e32 vcc, 0, v2
	buffer_wbl2 sc1
	s_waitcnt vmcnt(0) lgkmcnt(0)
	buffer_inv sc1
	s_and_saveexec_b64 s[56:57], vcc
	s_cbranch_execz .LBB4_94
; %bb.93:                               ;   in Loop: Header=BB4_73 Depth=2
	s_bcnt1_i32_b64 s24, s[58:59]
	v_mov_b32_e32 v66, s24
	ds_add_u64 v0, v[66:67]
	s_trap 2
.LBB4_94:                               ;   in Loop: Header=BB4_73 Depth=2
	s_or_b64 exec, exec, s[56:57]
	s_trap 2
	ds_read_b64 v[2:3], v0
	s_waitcnt lgkmcnt(0)
	v_lshl_add_u64 v[54:55], v[54:55], 0, v[80:81]
	v_cmp_lt_u64_e32 vcc, v[2:3], v[54:55]
	s_and_saveexec_b64 s[56:57], vcc
	s_cbranch_execz .LBB4_103
; %bb.95:                               ;   in Loop: Header=BB4_73 Depth=2
	s_mov_b32 s24, 0
	s_mov_b64 s[58:59], 0
                                        ; implicit-def: $sgpr60_sgpr61
                                        ; implicit-def: $sgpr62_sgpr63
	s_branch .LBB4_97
.LBB4_96:                               ;   in Loop: Header=BB4_97 Depth=3
	s_or_b64 exec, exec, s[74:75]
	s_and_b64 s[72:73], exec, s[76:77]
	s_or_b64 s[58:59], s[72:73], s[58:59]
	s_andn2_b64 s[60:61], s[60:61], exec
	s_and_b64 s[72:73], s[62:63], exec
	s_or_b64 s[60:61], s[60:61], s[72:73]
	s_andn2_b64 exec, exec, s[58:59]
	s_cbranch_execz .LBB4_101
.LBB4_97:                               ;   Parent Loop BB4_24 Depth=1
                                        ;     Parent Loop BB4_73 Depth=2
                                        ; =>    This Inner Loop Header: Depth=3
	s_add_i32 s24, s24, 1
	s_cmpk_lg_i32 s24, 0x2710
	s_cselect_b64 s[72:73], -1, 0
	s_and_b64 vcc, exec, s[72:73]
	s_cbranch_vccz .LBB4_99
; %bb.98:                               ;   in Loop: Header=BB4_97 Depth=3
	s_mov_b64 s[76:77], -1
	s_or_b64 s[62:63], s[62:63], exec
	s_and_saveexec_b64 s[74:75], s[72:73]
	s_cbranch_execz .LBB4_96
	s_branch .LBB4_100
.LBB4_99:                               ;   in Loop: Header=BB4_97 Depth=3
	s_trap 2
	ds_read_b64 v[2:3], v0
	s_andn2_b64 s[72:73], s[72:73], exec
	s_mov_b32 s24, 0
	s_waitcnt lgkmcnt(0)
	flat_load_dword v2, v[2:3] sc0 sc1
	s_waitcnt vmcnt(0) lgkmcnt(0)
	buffer_inv sc0 sc1
	v_cmp_eq_u32_e32 vcc, 0, v2
	s_and_b64 s[74:75], vcc, exec
	s_or_b64 s[72:73], s[72:73], s[74:75]
	s_mov_b64 s[76:77], -1
	s_or_b64 s[62:63], s[62:63], exec
	s_and_saveexec_b64 s[74:75], s[72:73]
	s_cbranch_execz .LBB4_96
.LBB4_100:                              ;   in Loop: Header=BB4_97 Depth=3
	s_sleep 1
	s_trap 2
	ds_read_b64 v[2:3], v0
	s_waitcnt lgkmcnt(0)
	s_andn2_b64 s[62:63], s[62:63], exec
	v_cmp_ge_u64_e32 vcc, v[2:3], v[54:55]
	s_orn2_b64 s[76:77], vcc, exec
	s_branch .LBB4_96
.LBB4_101:                              ;   in Loop: Header=BB4_73 Depth=2
	s_or_b64 exec, exec, s[58:59]
	s_and_saveexec_b64 s[58:59], s[60:61]
	s_xor_b64 s[58:59], exec, s[58:59]
	s_cbranch_execz .LBB4_103
; %bb.102:                              ;   in Loop: Header=BB4_73 Depth=2
	ds_write_b32 v0, v1
	s_trap 2
.LBB4_103:                              ;   in Loop: Header=BB4_73 Depth=2
	s_or_b64 exec, exec, s[56:57]
	;;#ASMSTART
	s_wakeup
	;;#ASMEND
.LBB4_104:                              ;   in Loop: Header=BB4_73 Depth=2
	s_or_b64 exec, exec, s[46:47]
.LBB4_105:                              ;   in Loop: Header=BB4_73 Depth=2
	s_andn2_saveexec_b64 s[44:45], s[44:45]
	s_cbranch_execz .LBB4_107
; %bb.106:                              ;   in Loop: Header=BB4_73 Depth=2
	buffer_wbl2 sc1
	s_waitcnt vmcnt(0) lgkmcnt(0)
	buffer_inv sc1
	s_barrier
.LBB4_107:                              ;   in Loop: Header=BB4_73 Depth=2
	s_or_b64 exec, exec, s[44:45]
.LBB4_108:                              ;   in Loop: Header=BB4_73 Depth=2
	s_or_b64 exec, exec, s[16:17]
	v_add_u32_e32 v3, 1, v114
	v_mov_b32_e32 v66, v0
	s_and_saveexec_b64 s[44:45], s[14:15]
	s_cbranch_execnz .LBB4_115
; %bb.109:                              ;   in Loop: Header=BB4_73 Depth=2
	s_or_b64 exec, exec, s[44:45]
	s_and_saveexec_b64 s[16:17], s[6:7]
	s_cbranch_execnz .LBB4_134
.LBB4_110:                              ;   in Loop: Header=BB4_73 Depth=2
	s_or_b64 exec, exec, s[16:17]
	s_and_saveexec_b64 s[16:17], s[10:11]
	s_cbranch_execz .LBB4_112
.LBB4_111:                              ;   in Loop: Header=BB4_73 Depth=2
	v_lshl_add_u64 v[38:39], v[38:39], 0, 1
	flat_store_dwordx2 v[48:49], v[38:39] sc0 sc1
.LBB4_112:                              ;   in Loop: Header=BB4_73 Depth=2
	s_or_b64 exec, exec, s[16:17]
	s_waitcnt vmcnt(0) lgkmcnt(0)
	v_and_b32_e32 v4, 0x7ffffff8, v114
	v_mov_b32_e32 v5, v67
	v_cmp_eq_u64_e32 vcc, s[42:43], v[4:5]
	v_cmp_gt_i32_e64 s[16:17], s90, v66
	s_and_b64 s[44:45], vcc, s[16:17]
	s_and_saveexec_b64 s[16:17], s[44:45]
	s_cbranch_execz .LBB4_72
; %bb.113:                              ;   in Loop: Header=BB4_73 Depth=2
	v_and_b32_e32 v2, 7, v58
	v_mul_lo_u32 v4, s90, v2
	v_ashrrev_i32_e32 v5, 31, v4
	v_lshlrev_b64 v[4:5], 4, v[4:5]
	v_ashrrev_i32_e32 v17, 31, v66
	v_mov_b32_e32 v16, v66
	v_lshl_add_u64 v[4:5], v[16:17], 4, v[4:5]
	v_mov_b32_e32 v2, v67
	v_lshl_add_u64 v[16:17], v[36:37], 0, v[4:5]
	s_mov_b64 s[44:45], 0
.LBB4_114:                              ;   Parent Loop BB4_24 Depth=1
                                        ;     Parent Loop BB4_73 Depth=2
                                        ; =>    This Inner Loop Header: Depth=3
	v_add_u32_e32 v66, v66, v20
	v_mov_b32_e32 v4, v2
	v_mov_b32_e32 v5, v3
	v_cmp_le_i32_e32 vcc, s90, v66
	global_store_dwordx4 v[16:17], v[2:5], off
	s_or_b64 s[44:45], vcc, s[44:45]
	v_lshl_add_u64 v[16:17], v[16:17], 0, v[100:101]
	buffer_wbl2 sc0 sc1
	s_waitcnt vmcnt(0)
	s_andn2_b64 exec, exec, s[44:45]
	s_cbranch_execnz .LBB4_114
	s_branch .LBB4_72
.LBB4_115:                              ;   in Loop: Header=BB4_73 Depth=2
	s_waitcnt vmcnt(0) lgkmcnt(0)
	v_ashrrev_i32_e32 v2, 31, v16
	v_mad_u64_u32 v[4:5], s[16:17], v68, v16, v[116:117]
	v_mul_lo_u32 v16, v69, v16
	v_mul_lo_u32 v2, v68, v2
	v_add3_u32 v5, v16, v5, v2
	v_and_b32_e32 v2, 7, v34
	v_mul_lo_u32 v16, v2, s90
	v_ashrrev_i32_e32 v17, 31, v16
	v_and_b32_e32 v2, 7, v114
	v_lshl_add_u64 v[118:119], v[16:17], 4, v[32:33]
	v_mul_lo_u32 v16, v2, s90
	v_ashrrev_i32_e32 v17, 31, v16
	v_add_u32_e32 v59, 1, v34
	v_lshl_add_u64 v[40:41], v[16:17], 4, v[36:37]
	s_mov_b64 s[46:47], 0
	v_mov_b32_e32 v60, v56
	v_mov_b32_e32 v66, v0
	s_branch .LBB4_119
.LBB4_116:                              ;   in Loop: Header=BB4_119 Depth=3
	s_or_b64 exec, exec, s[16:17]
.LBB4_117:                              ;   in Loop: Header=BB4_119 Depth=3
	s_or_b64 exec, exec, s[58:59]
.LBB4_118:                              ;   in Loop: Header=BB4_119 Depth=3
	s_or_b64 exec, exec, s[56:57]
	v_lshl_add_u64 v[42:43], v[4:5], 0, v[84:85]
	v_lshlrev_b32_e32 v4, 3, v4
	s_waitcnt vmcnt(1)
	v_alignbit_b32 v2, v62, v2, v4
	v_alignbit_b32 v4, v61, v62, v4
	s_waitcnt vmcnt(0)
	v_and_b32_e32 v5, 0xff00ff, v16
	v_and_b32_e32 v17, 0xff00ff, v2
	;; [unrolled: 1-line block ×4, first 2 shown]
	v_add_u32_e32 v5, v5, v17
	v_add_u32_e32 v2, v16, v2
	v_and_b32_e32 v16, 0xff00ff, v18
	v_and_b32_e32 v17, 0xff00ff, v4
	v_add_u32_e32 v19, v16, v17
	v_and_b32_e32 v16, 0xff00ff00, v18
	v_and_b32_e32 v4, 0xff00ff00, v4
	v_add_u32_e32 v4, v16, v4
	v_sub_u32_e32 v60, v60, v84
	v_lshl_add_u64 v[16:17], v[66:67], 4, v[40:41]
	v_perm_b32 v2, v2, v5, s91
	v_perm_b32 v4, v4, v19, s91
	v_mov_b32_e32 v5, v3
	v_cmp_gt_i32_e32 vcc, 1, v60
	global_store_dwordx4 v[16:17], v[2:5], off
	v_add_u32_e32 v66, v66, v20
	s_or_b64 s[46:47], vcc, s[46:47]
	v_mov_b64_e32 v[4:5], v[42:43]
	buffer_wbl2 sc0 sc1
	s_waitcnt vmcnt(0) lgkmcnt(0)
	s_andn2_b64 exec, exec, s[46:47]
	s_cbranch_execz .LBB4_133
.LBB4_119:                              ;   Parent Loop BB4_24 Depth=1
                                        ;     Parent Loop BB4_73 Depth=2
                                        ; =>    This Loop Header: Depth=3
                                        ;         Child Loop BB4_127 Depth 4
	v_and_b32_e32 v16, -4, v4
	v_mov_b32_e32 v17, v5
	global_load_dword v2, v[16:17], off nt
	v_min_u32_e32 v18, 8, v60
	v_and_b32_e32 v19, 3, v4
	v_add_u32_e32 v18, v19, v18
	v_cmp_lt_u32_e32 vcc, 4, v18
	v_mov_b32_e32 v61, 0
	v_mov_b32_e32 v62, 0
	s_and_saveexec_b64 s[16:17], vcc
	s_cbranch_execz .LBB4_121
; %bb.120:                              ;   in Loop: Header=BB4_119 Depth=3
	global_load_dword v62, v[16:17], off offset:4 nt
.LBB4_121:                              ;   in Loop: Header=BB4_119 Depth=3
	s_or_b64 exec, exec, s[16:17]
	v_mov_b32_e32 v19, v67
	v_cmp_lt_u64_e32 vcc, 8, v[18:19]
	s_and_saveexec_b64 s[16:17], vcc
	s_cbranch_execz .LBB4_123
; %bb.122:                              ;   in Loop: Header=BB4_119 Depth=3
	global_load_dword v61, v[16:17], off offset:8 nt
.LBB4_123:                              ;   in Loop: Header=BB4_119 Depth=3
	s_or_b64 exec, exec, s[16:17]
	v_lshl_add_u64 v[42:43], v[66:67], 4, v[118:119]
	global_load_dwordx4 v[16:19], v[42:43], off nt
	v_cmp_eq_u32_e32 vcc, 0, v21
	v_mov_b32_e32 v21, 1
	s_and_saveexec_b64 s[56:57], vcc
	s_cbranch_execz .LBB4_118
; %bb.124:                              ;   in Loop: Header=BB4_119 Depth=3
	s_waitcnt vmcnt(0)
	v_cmp_ne_u32_e32 vcc, v59, v17
	v_cmp_ne_u32_e64 s[16:17], v59, v19
	s_or_b64 s[16:17], vcc, s[16:17]
	v_mov_b32_e32 v21, 0
	s_and_saveexec_b64 s[58:59], s[16:17]
	s_cbranch_execz .LBB4_117
; %bb.125:                              ;   in Loop: Header=BB4_119 Depth=3
	s_mov_b32 s24, 1
	s_mov_b64 s[62:63], 0
                                        ; implicit-def: $sgpr60_sgpr61
                                        ; implicit-def: $sgpr72_sgpr73
	s_branch .LBB4_127
.LBB4_126:                              ;   in Loop: Header=BB4_127 Depth=4
	s_or_b64 exec, exec, s[76:77]
	s_and_b64 s[16:17], exec, s[16:17]
	s_or_b64 s[62:63], s[16:17], s[62:63]
	s_andn2_b64 s[16:17], s[60:61], exec
	s_and_b64 s[60:61], s[72:73], exec
	s_or_b64 s[60:61], s[16:17], s[60:61]
	s_andn2_b64 exec, exec, s[62:63]
	s_cbranch_execz .LBB4_131
.LBB4_127:                              ;   Parent Loop BB4_24 Depth=1
                                        ;     Parent Loop BB4_73 Depth=2
                                        ;       Parent Loop BB4_119 Depth=3
                                        ; =>      This Inner Loop Header: Depth=4
	global_load_dwordx4 v[16:19], v[42:43], off nt
	s_add_i32 s24, s24, 1
	s_mov_b64 s[16:17], -1
	s_cmpk_lg_i32 s24, 0x2710
	s_mov_b64 s[74:75], -1
                                        ; implicit-def: $vgpr63
	s_cbranch_scc0 .LBB4_129
; %bb.128:                              ;   in Loop: Header=BB4_127 Depth=4
	s_or_b64 s[72:73], s[72:73], exec
	s_and_saveexec_b64 s[76:77], s[74:75]
	s_cbranch_execz .LBB4_126
	s_branch .LBB4_130
.LBB4_129:                              ;   in Loop: Header=BB4_127 Depth=4
	s_trap 2
	ds_read_b64 v[72:73], v0
	s_mov_b32 s24, 0
	s_waitcnt vmcnt(0) lgkmcnt(0)
	flat_load_dword v63, v[72:73] sc0 sc1
	s_waitcnt vmcnt(0) lgkmcnt(0)
	buffer_inv sc0 sc1
	v_cmp_eq_u32_e32 vcc, 0, v63
	s_orn2_b64 s[74:75], vcc, exec
	s_or_b64 s[72:73], s[72:73], exec
	s_and_saveexec_b64 s[76:77], s[74:75]
	s_cbranch_execz .LBB4_126
.LBB4_130:                              ;   in Loop: Header=BB4_127 Depth=4
	s_waitcnt vmcnt(0)
	v_cmp_eq_u32_e32 vcc, v59, v17
	v_cmp_eq_u32_e64 s[16:17], v59, v19
	s_and_b64 s[16:17], vcc, s[16:17]
	s_andn2_b64 s[72:73], s[72:73], exec
	s_orn2_b64 s[16:17], s[16:17], exec
	s_branch .LBB4_126
.LBB4_131:                              ;   in Loop: Header=BB4_119 Depth=3
	s_or_b64 exec, exec, s[62:63]
	v_mov_b32_e32 v21, 0
	s_and_saveexec_b64 s[16:17], s[60:61]
	s_xor_b64 s[16:17], exec, s[16:17]
	s_cbranch_execz .LBB4_116
; %bb.132:                              ;   in Loop: Header=BB4_119 Depth=3
	v_mov_b32_e32 v21, 1
	ds_write_b32 v0, v63
	s_trap 2
	s_branch .LBB4_116
.LBB4_133:                              ;   in Loop: Header=BB4_73 Depth=2
	s_or_b64 exec, exec, s[46:47]
	s_or_b64 exec, exec, s[44:45]
	s_and_saveexec_b64 s[16:17], s[6:7]
	s_cbranch_execz .LBB4_110
.LBB4_134:                              ;   in Loop: Header=BB4_73 Depth=2
	s_and_saveexec_b64 s[44:45], s[28:29]
	s_xor_b64 s[44:45], exec, s[44:45]
	s_cbranch_execz .LBB4_149
; %bb.135:                              ;   in Loop: Header=BB4_73 Depth=2
	s_and_saveexec_b64 s[46:47], s[8:9]
	s_cbranch_execz .LBB4_148
; %bb.136:                              ;   in Loop: Header=BB4_73 Depth=2
	s_mov_b64 s[58:59], exec
	v_mbcnt_lo_u32_b32 v2, s58, 0
	v_mbcnt_hi_u32_b32 v2, s59, v2
	v_cmp_eq_u32_e32 vcc, 0, v2
	buffer_wbl2 sc1
	s_waitcnt vmcnt(0) lgkmcnt(0)
	buffer_inv sc1
	s_and_saveexec_b64 s[56:57], vcc
	s_cbranch_execz .LBB4_138
; %bb.137:                              ;   in Loop: Header=BB4_73 Depth=2
	s_bcnt1_i32_b64 s24, s[58:59]
	v_mov_b32_e32 v4, s24
	v_mov_b32_e32 v5, v67
	ds_add_u64 v0, v[4:5]
	s_trap 2
.LBB4_138:                              ;   in Loop: Header=BB4_73 Depth=2
	s_or_b64 exec, exec, s[56:57]
	s_trap 2
	ds_read_b64 v[4:5], v0
	s_waitcnt lgkmcnt(0)
	v_lshl_add_u64 v[54:55], v[54:55], 0, v[80:81]
	v_cmp_lt_u64_e32 vcc, v[4:5], v[54:55]
	s_and_saveexec_b64 s[56:57], vcc
	s_cbranch_execz .LBB4_147
; %bb.139:                              ;   in Loop: Header=BB4_73 Depth=2
	s_mov_b32 s24, 0
	s_mov_b64 s[58:59], 0
                                        ; implicit-def: $sgpr60_sgpr61
                                        ; implicit-def: $sgpr62_sgpr63
	s_branch .LBB4_141
.LBB4_140:                              ;   in Loop: Header=BB4_141 Depth=3
	s_or_b64 exec, exec, s[74:75]
	s_and_b64 s[72:73], exec, s[76:77]
	s_or_b64 s[58:59], s[72:73], s[58:59]
	s_andn2_b64 s[60:61], s[60:61], exec
	s_and_b64 s[72:73], s[62:63], exec
	s_or_b64 s[60:61], s[60:61], s[72:73]
	s_andn2_b64 exec, exec, s[58:59]
	s_cbranch_execz .LBB4_145
.LBB4_141:                              ;   Parent Loop BB4_24 Depth=1
                                        ;     Parent Loop BB4_73 Depth=2
                                        ; =>    This Inner Loop Header: Depth=3
	s_add_i32 s24, s24, 1
	s_cmpk_lg_i32 s24, 0x2710
	s_cselect_b64 s[72:73], -1, 0
	s_and_b64 vcc, exec, s[72:73]
	s_cbranch_vccz .LBB4_143
; %bb.142:                              ;   in Loop: Header=BB4_141 Depth=3
	s_mov_b64 s[76:77], -1
	s_or_b64 s[62:63], s[62:63], exec
	s_and_saveexec_b64 s[74:75], s[72:73]
	s_cbranch_execz .LBB4_140
	s_branch .LBB4_144
.LBB4_143:                              ;   in Loop: Header=BB4_141 Depth=3
	s_trap 2
	ds_read_b64 v[4:5], v0
	s_andn2_b64 s[72:73], s[72:73], exec
	s_mov_b32 s24, 0
	s_waitcnt lgkmcnt(0)
	flat_load_dword v2, v[4:5] sc0 sc1
	s_waitcnt vmcnt(0) lgkmcnt(0)
	buffer_inv sc0 sc1
	v_cmp_eq_u32_e32 vcc, 0, v2
	s_and_b64 s[74:75], vcc, exec
	s_or_b64 s[72:73], s[72:73], s[74:75]
	s_mov_b64 s[76:77], -1
	s_or_b64 s[62:63], s[62:63], exec
	s_and_saveexec_b64 s[74:75], s[72:73]
	s_cbranch_execz .LBB4_140
.LBB4_144:                              ;   in Loop: Header=BB4_141 Depth=3
	s_sleep 1
	s_trap 2
	ds_read_b64 v[4:5], v0
	s_waitcnt lgkmcnt(0)
	s_andn2_b64 s[62:63], s[62:63], exec
	v_cmp_ge_u64_e32 vcc, v[4:5], v[54:55]
	s_orn2_b64 s[76:77], vcc, exec
	s_branch .LBB4_140
.LBB4_145:                              ;   in Loop: Header=BB4_73 Depth=2
	s_or_b64 exec, exec, s[58:59]
	s_and_saveexec_b64 s[58:59], s[60:61]
	s_xor_b64 s[58:59], exec, s[58:59]
	s_cbranch_execz .LBB4_147
; %bb.146:                              ;   in Loop: Header=BB4_73 Depth=2
	ds_write_b32 v0, v1
	s_trap 2
.LBB4_147:                              ;   in Loop: Header=BB4_73 Depth=2
	s_or_b64 exec, exec, s[56:57]
	;;#ASMSTART
	s_wakeup
	;;#ASMEND
.LBB4_148:                              ;   in Loop: Header=BB4_73 Depth=2
	s_or_b64 exec, exec, s[46:47]
.LBB4_149:                              ;   in Loop: Header=BB4_73 Depth=2
	s_andn2_saveexec_b64 s[44:45], s[44:45]
	s_cbranch_execz .LBB4_151
; %bb.150:                              ;   in Loop: Header=BB4_73 Depth=2
	buffer_wbl2 sc1
	s_waitcnt vmcnt(0) lgkmcnt(0)
	buffer_inv sc1
	s_barrier
.LBB4_151:                              ;   in Loop: Header=BB4_73 Depth=2
	s_or_b64 exec, exec, s[44:45]
	s_or_b64 exec, exec, s[16:17]
	s_and_saveexec_b64 s[16:17], s[10:11]
	s_cbranch_execnz .LBB4_111
	s_branch .LBB4_112
.LBB4_152:                              ;   in Loop: Header=BB4_24 Depth=1
	v_mov_b64_e32 v[16:17], v[114:115]
	s_and_saveexec_b64 s[16:17], s[14:15]
	s_cbranch_execnz .LBB4_155
; %bb.153:                              ;   in Loop: Header=BB4_24 Depth=1
	s_or_b64 exec, exec, s[16:17]
	s_and_saveexec_b64 s[14:15], s[6:7]
	s_cbranch_execnz .LBB4_192
.LBB4_154:                              ;   in Loop: Header=BB4_24 Depth=1
	s_or_b64 exec, exec, s[14:15]
	s_and_saveexec_b64 s[14:15], s[10:11]
	s_cbranch_execz .LBB4_23
	s_branch .LBB4_210
.LBB4_155:                              ;   in Loop: Header=BB4_24 Depth=1
	flat_load_dword v66, v[22:23]
	s_waitcnt vmcnt(0) lgkmcnt(0)
	v_and_b32_e32 v4, 7, v34
	v_mul_lo_u32 v4, v4, s90
	v_ashrrev_i32_e32 v5, 31, v4
	v_lshl_add_u64 v[2:3], v[10:11], 0, v[112:113]
	v_lshl_add_u64 v[18:19], v[8:9], 0, v[112:113]
	;; [unrolled: 1-line block ×3, first 2 shown]
	v_add_u32_e32 v40, 1, v34
	s_mov_b64 s[44:45], 0
	v_mov_b32_e32 v116, v0
	v_ashrrev_i32_e32 v4, 31, v66
	v_mul_lo_u32 v5, v69, v66
	v_mad_u64_u32 v[2:3], s[14:15], v68, v66, v[2:3]
	v_mul_lo_u32 v4, v68, v4
	v_add3_u32 v3, v5, v3, v4
	v_lshl_add_u64 v[114:115], v[2:3], 0, v[82:83]
	s_branch .LBB4_157
.LBB4_156:                              ;   in Loop: Header=BB4_157 Depth=2
	v_sub_u32_e32 v56, v56, v84
	v_cmp_gt_i32_e32 vcc, 1, v56
	v_lshl_add_u64 v[114:115], v[114:115], 0, v[84:85]
	v_lshl_add_u64 v[18:19], v[18:19], 0, v[84:85]
	s_or_b64 s[44:45], vcc, s[44:45]
	v_add_u32_e32 v116, v116, v20
	s_andn2_b64 exec, exec, s[44:45]
	s_cbranch_execz .LBB4_191
.LBB4_157:                              ;   Parent Loop BB4_24 Depth=1
                                        ; =>  This Loop Header: Depth=2
                                        ;       Child Loop BB4_165 Depth 3
	v_and_b32_e32 v2, -4, v114
	v_mov_b32_e32 v3, v115
	global_load_dword v41, v[2:3], off nt
	v_min_u32_e32 v4, 8, v56
	v_and_b32_e32 v5, 3, v114
	v_add_u32_e32 v66, v5, v4
	v_cmp_lt_u32_e32 vcc, 4, v66
	v_mov_b32_e32 v42, 0
	v_mov_b32_e32 v43, 0
	s_and_saveexec_b64 s[14:15], vcc
	s_cbranch_execz .LBB4_159
; %bb.158:                              ;   in Loop: Header=BB4_157 Depth=2
	global_load_dword v43, v[2:3], off offset:4 nt
.LBB4_159:                              ;   in Loop: Header=BB4_157 Depth=2
	s_or_b64 exec, exec, s[14:15]
	v_cmp_lt_u64_e32 vcc, 8, v[66:67]
	s_and_saveexec_b64 s[14:15], vcc
	s_cbranch_execz .LBB4_161
; %bb.160:                              ;   in Loop: Header=BB4_157 Depth=2
	global_load_dword v42, v[2:3], off offset:8 nt
.LBB4_161:                              ;   in Loop: Header=BB4_157 Depth=2
	s_or_b64 exec, exec, s[14:15]
	v_mov_b32_e32 v117, v67
	v_lshl_add_u64 v[118:119], v[116:117], 4, v[112:113]
	global_load_dwordx4 v[2:5], v[118:119], off nt
	v_cmp_eq_u32_e32 vcc, 0, v21
	v_mov_b32_e32 v21, 1
	s_and_saveexec_b64 s[46:47], vcc
	s_cbranch_execz .LBB4_173
; %bb.162:                              ;   in Loop: Header=BB4_157 Depth=2
	s_waitcnt vmcnt(0)
	v_cmp_ne_u32_e32 vcc, v40, v3
	v_cmp_ne_u32_e64 s[14:15], v40, v5
	s_or_b64 s[14:15], vcc, s[14:15]
	v_mov_b32_e32 v21, 0
	s_and_saveexec_b64 s[56:57], s[14:15]
	s_cbranch_execz .LBB4_172
; %bb.163:                              ;   in Loop: Header=BB4_157 Depth=2
	s_mov_b32 s24, 1
	s_mov_b64 s[60:61], 0
                                        ; implicit-def: $sgpr58_sgpr59
                                        ; implicit-def: $sgpr62_sgpr63
	s_branch .LBB4_165
.LBB4_164:                              ;   in Loop: Header=BB4_165 Depth=3
	s_or_b64 exec, exec, s[74:75]
	s_and_b64 s[14:15], exec, s[14:15]
	s_or_b64 s[60:61], s[14:15], s[60:61]
	s_andn2_b64 s[14:15], s[58:59], exec
	s_and_b64 s[58:59], s[62:63], exec
	s_or_b64 s[58:59], s[14:15], s[58:59]
	s_andn2_b64 exec, exec, s[60:61]
	s_cbranch_execz .LBB4_169
.LBB4_165:                              ;   Parent Loop BB4_24 Depth=1
                                        ;     Parent Loop BB4_157 Depth=2
                                        ; =>    This Inner Loop Header: Depth=3
	global_load_dwordx4 v[2:5], v[118:119], off nt
	s_add_i32 s24, s24, 1
	s_mov_b64 s[14:15], -1
	s_cmpk_lg_i32 s24, 0x2710
	s_mov_b64 s[72:73], -1
                                        ; implicit-def: $vgpr66
	s_cbranch_scc0 .LBB4_167
; %bb.166:                              ;   in Loop: Header=BB4_165 Depth=3
	s_or_b64 s[62:63], s[62:63], exec
	s_and_saveexec_b64 s[74:75], s[72:73]
	s_cbranch_execz .LBB4_164
	s_branch .LBB4_168
.LBB4_167:                              ;   in Loop: Header=BB4_165 Depth=3
	s_trap 2
	ds_read_b64 v[58:59], v0
	s_mov_b32 s24, 0
	s_waitcnt vmcnt(0) lgkmcnt(0)
	flat_load_dword v66, v[58:59] sc0 sc1
	s_waitcnt vmcnt(0) lgkmcnt(0)
	buffer_inv sc0 sc1
	v_cmp_eq_u32_e32 vcc, 0, v66
	s_orn2_b64 s[72:73], vcc, exec
	s_or_b64 s[62:63], s[62:63], exec
	s_and_saveexec_b64 s[74:75], s[72:73]
	s_cbranch_execz .LBB4_164
.LBB4_168:                              ;   in Loop: Header=BB4_165 Depth=3
	s_waitcnt vmcnt(0)
	v_cmp_eq_u32_e32 vcc, v40, v3
	v_cmp_eq_u32_e64 s[14:15], v40, v5
	s_and_b64 s[14:15], vcc, s[14:15]
	s_andn2_b64 s[62:63], s[62:63], exec
	s_orn2_b64 s[14:15], s[14:15], exec
	s_branch .LBB4_164
.LBB4_169:                              ;   in Loop: Header=BB4_157 Depth=2
	s_or_b64 exec, exec, s[60:61]
	v_mov_b32_e32 v21, 0
	s_and_saveexec_b64 s[14:15], s[58:59]
	s_xor_b64 s[14:15], exec, s[14:15]
	s_cbranch_execz .LBB4_171
; %bb.170:                              ;   in Loop: Header=BB4_157 Depth=2
	v_mov_b32_e32 v21, 1
	ds_write_b32 v0, v66
	s_trap 2
.LBB4_171:                              ;   in Loop: Header=BB4_157 Depth=2
	s_or_b64 exec, exec, s[14:15]
.LBB4_172:                              ;   in Loop: Header=BB4_157 Depth=2
	s_or_b64 exec, exec, s[56:57]
.LBB4_173:                              ;   in Loop: Header=BB4_157 Depth=2
	s_or_b64 exec, exec, s[46:47]
	s_waitcnt vmcnt(0)
	v_lshlrev_b32_e32 v3, 3, v114
	v_alignbit_b32 v5, v43, v41, v3
	v_alignbit_b32 v3, v42, v43, v3
	v_and_b32_e32 v66, 0xff00ff, v2
	v_and_b32_e32 v117, 0xff00ff, v5
	;; [unrolled: 1-line block ×4, first 2 shown]
	v_add_u32_e32 v66, v66, v117
	v_add_u32_e32 v5, v2, v5
	v_and_b32_e32 v2, 0xff00ff, v4
	v_and_b32_e32 v118, 0xff00ff, v3
	v_add_u32_e32 v118, v2, v118
	v_and_b32_e32 v2, 0xff00ff00, v4
	v_and_b32_e32 v3, 0xff00ff00, v3
	v_cmp_lt_i16_sdwa s[14:15], sext(v66), v67 src0_sel:BYTE_0 src1_sel:DWORD
	v_add_u32_e32 v119, v2, v3
	v_sub_u16_e32 v2, 0, v66
	s_and_b64 vcc, s[12:13], s[14:15]
	v_cndmask_b32_e32 v2, v66, v2, vcc
	v_and_b32_e32 v2, 0xff, v2
	v_mul_hi_u32 v3, v2, v30
	v_mul_lo_u32 v4, v46, v3
	v_sub_u32_e32 v2, v2, v4
	v_cmp_ge_u32_e64 s[14:15], v2, v46
	v_perm_b32 v117, v5, v66, s91
	v_and_b32_e32 v4, 0x8000, v117
	v_addc_co_u32_e64 v2, s[14:15], 0, v3, s[14:15]
	v_sub_u32_e32 v3, 0, v2
	v_cndmask_b32_e32 v2, v2, v3, vcc
	v_lshrrev_b32_e32 v3, 8, v5
	v_cmp_ne_u32_e32 vcc, 0, v4
	v_sub_u16_e32 v4, 0, v3
	s_and_b64 vcc, s[12:13], vcc
	v_cndmask_b32_e32 v3, v3, v4, vcc
	v_and_b32_e32 v3, 0xff, v3
	v_mul_hi_u32 v4, v3, v30
	v_mul_lo_u32 v42, v46, v4
	v_sub_u32_e32 v3, v3, v42
	v_cmp_ge_u32_e64 s[14:15], v3, v46
	v_lshrrev_b32_e32 v5, 24, v5
	v_perm_b32 v41, v119, v118, s91
	v_addc_co_u32_e64 v3, s[14:15], 0, v4, s[14:15]
	v_sub_u32_e32 v4, 0, v3
	v_cndmask_b32_e32 v3, v3, v4, vcc
	v_lshrrev_b32_e32 v4, 16, v66
	v_cmp_lt_i16_sdwa s[14:15], sext(v4), v67 src0_sel:BYTE_0 src1_sel:DWORD
	v_sub_u16_e32 v66, 0, v4
	s_and_b64 vcc, s[12:13], s[14:15]
	v_cndmask_b32_e32 v4, v4, v66, vcc
	v_and_b32_e32 v4, 0xff, v4
	v_mul_hi_u32 v66, v4, v30
	v_mul_lo_u32 v42, v46, v66
	v_sub_u32_e32 v4, v4, v42
	v_cmp_ge_u32_e64 s[14:15], v4, v46
	s_nop 1
	v_addc_co_u32_e64 v4, s[14:15], 0, v66, s[14:15]
	v_sub_u32_e32 v66, 0, v4
	v_cndmask_b32_e32 v4, v4, v66, vcc
	v_and_b32_e32 v66, v45, v117
	v_sub_u16_e32 v117, 0, v5
	v_cmp_lt_i32_e32 vcc, -1, v66
	s_nop 1
	v_cndmask_b32_e32 v5, v117, v5, vcc
	v_and_b32_e32 v5, 0xff, v5
	v_mul_hi_u32 v66, v5, v30
	v_mul_lo_u32 v117, v46, v66
	v_sub_u32_e32 v5, v5, v117
	v_cmp_ge_u32_e64 s[14:15], v5, v46
	s_nop 1
	v_addc_co_u32_e64 v5, s[14:15], 0, v66, s[14:15]
	v_sub_u32_e32 v66, 0, v5
	v_cmp_lt_i16_sdwa s[14:15], sext(v118), v67 src0_sel:BYTE_0 src1_sel:DWORD
	v_cndmask_b32_e32 v5, v66, v5, vcc
	v_sub_u16_e32 v66, 0, v118
	s_and_b64 vcc, s[12:13], s[14:15]
	v_cndmask_b32_e32 v66, v118, v66, vcc
	v_and_b32_e32 v66, 0xff, v66
	v_mul_hi_u32 v117, v66, v30
	v_mul_lo_u32 v42, v46, v117
	v_sub_u32_e32 v66, v66, v42
	v_cmp_ge_u32_e64 s[14:15], v66, v46
	v_and_b32_e32 v42, 0x8000, v41
	v_lshrrev_b32_e32 v118, 16, v118
	v_addc_co_u32_e64 v66, s[14:15], 0, v117, s[14:15]
	v_sub_u32_e32 v117, 0, v66
	v_cndmask_b32_e32 v66, v66, v117, vcc
	v_lshrrev_b32_e32 v117, 8, v119
	v_cmp_ne_u32_e32 vcc, 0, v42
	v_sub_u16_e32 v42, 0, v117
	s_and_b64 vcc, s[12:13], vcc
	v_cndmask_b32_e32 v117, v117, v42, vcc
	v_and_b32_e32 v117, 0xff, v117
	v_mul_hi_u32 v42, v117, v30
	v_mul_lo_u32 v43, v46, v42
	v_sub_u32_e32 v117, v117, v43
	v_cmp_ge_u32_e64 s[14:15], v117, v46
	v_lshrrev_b32_e32 v119, 24, v119
	v_and_b32_e32 v41, v45, v41
	v_addc_co_u32_e64 v117, s[14:15], 0, v42, s[14:15]
	v_sub_u32_e32 v42, 0, v117
	v_cmp_lt_i16_sdwa s[14:15], sext(v118), v67 src0_sel:BYTE_0 src1_sel:DWORD
	v_cndmask_b32_e32 v117, v117, v42, vcc
	v_sub_u16_e32 v42, 0, v118
	s_and_b64 vcc, s[12:13], s[14:15]
	v_cndmask_b32_e32 v118, v118, v42, vcc
	v_and_b32_e32 v118, 0xff, v118
	v_mul_hi_u32 v42, v118, v30
	v_mul_lo_u32 v43, v46, v42
	v_sub_u32_e32 v118, v118, v43
	v_cmp_ge_u32_e64 s[14:15], v118, v46
	s_nop 1
	v_addc_co_u32_e64 v118, s[14:15], 0, v42, s[14:15]
	v_sub_u32_e32 v42, 0, v118
	v_cndmask_b32_e32 v118, v118, v42, vcc
	v_sub_u16_e32 v42, 0, v119
	v_cmp_lt_i32_e32 vcc, -1, v41
	s_nop 1
	v_cndmask_b32_e32 v119, v42, v119, vcc
	v_and_b32_e32 v119, 0xff, v119
	v_mul_hi_u32 v41, v119, v30
	v_mul_lo_u32 v42, v46, v41
	v_sub_u32_e32 v119, v119, v42
	v_cmp_ge_u32_e64 s[14:15], v119, v46
	s_nop 1
	v_addc_co_u32_e64 v119, s[14:15], 0, v41, s[14:15]
	v_sub_u32_e32 v41, 0, v119
	v_cndmask_b32_e32 v119, v41, v119, vcc
	v_cmp_lt_u32_e32 vcc, 7, v56
	s_cmp_lg_u64 vcc, exec
	s_mov_b64 s[14:15], -1
	s_cbranch_scc0 .LBB4_183
; %bb.174:                              ;   in Loop: Header=BB4_157 Depth=2
	v_cmp_ne_u32_e64 s[14:15], 1, v56
	flat_store_byte v[18:19], v2
	s_and_saveexec_b64 s[46:47], s[14:15]
	s_cbranch_execnz .LBB4_185
; %bb.175:                              ;   in Loop: Header=BB4_157 Depth=2
	s_or_b64 exec, exec, s[46:47]
	v_cmp_lt_u32_e64 s[14:15], 2, v56
	s_and_saveexec_b64 s[46:47], s[14:15]
	s_cbranch_execnz .LBB4_186
.LBB4_176:                              ;   in Loop: Header=BB4_157 Depth=2
	s_or_b64 exec, exec, s[46:47]
	v_cmp_lt_u32_e64 s[14:15], 3, v56
	s_and_saveexec_b64 s[46:47], s[14:15]
	s_cbranch_execnz .LBB4_187
.LBB4_177:                              ;   in Loop: Header=BB4_157 Depth=2
	s_or_b64 exec, exec, s[46:47]
	v_cmp_lt_u32_e64 s[14:15], 4, v56
	s_and_saveexec_b64 s[46:47], s[14:15]
	s_cbranch_execnz .LBB4_188
.LBB4_178:                              ;   in Loop: Header=BB4_157 Depth=2
	s_or_b64 exec, exec, s[46:47]
	v_cmp_lt_u32_e64 s[14:15], 5, v56
	s_and_saveexec_b64 s[46:47], s[14:15]
	s_cbranch_execnz .LBB4_189
.LBB4_179:                              ;   in Loop: Header=BB4_157 Depth=2
	s_or_b64 exec, exec, s[46:47]
	v_cmp_lt_u32_e64 s[14:15], 6, v56
	s_and_saveexec_b64 s[46:47], s[14:15]
	s_cbranch_execnz .LBB4_190
.LBB4_180:                              ;   in Loop: Header=BB4_157 Depth=2
	s_or_b64 exec, exec, s[46:47]
	s_and_saveexec_b64 s[14:15], vcc
	s_cbranch_execz .LBB4_182
.LBB4_181:                              ;   in Loop: Header=BB4_157 Depth=2
	flat_store_byte v[18:19], v119 offset:7
.LBB4_182:                              ;   in Loop: Header=BB4_157 Depth=2
	s_or_b64 exec, exec, s[14:15]
	s_mov_b64 s[14:15], 0
.LBB4_183:                              ;   in Loop: Header=BB4_157 Depth=2
	s_and_b64 vcc, exec, s[14:15]
	s_cbranch_vccz .LBB4_156
; %bb.184:                              ;   in Loop: Header=BB4_157 Depth=2
	v_perm_b32 v4, v5, v4, s92
	v_lshlrev_b32_e32 v3, 8, v3
	v_perm_b32 v2, v4, v2, s93
	v_and_or_b32 v2, v3, s94, v2
	v_and_b32_e32 v3, 0xff, v118
	v_lshlrev_b32_e32 v5, 8, v117
	v_lshlrev_b32_e32 v4, 24, v119
	;; [unrolled: 1-line block ×3, first 2 shown]
	v_perm_b32 v5, v5, v66, s95
	v_or3_b32 v3, v4, v3, v5
	global_store_dwordx2 v[18:19], v[2:3], off
	s_branch .LBB4_156
.LBB4_185:                              ;   in Loop: Header=BB4_157 Depth=2
	flat_store_byte v[18:19], v3 offset:1
	s_or_b64 exec, exec, s[46:47]
	v_cmp_lt_u32_e64 s[14:15], 2, v56
	s_and_saveexec_b64 s[46:47], s[14:15]
	s_cbranch_execz .LBB4_176
.LBB4_186:                              ;   in Loop: Header=BB4_157 Depth=2
	flat_store_byte v[18:19], v4 offset:2
	s_or_b64 exec, exec, s[46:47]
	v_cmp_lt_u32_e64 s[14:15], 3, v56
	s_and_saveexec_b64 s[46:47], s[14:15]
	s_cbranch_execz .LBB4_177
.LBB4_187:                              ;   in Loop: Header=BB4_157 Depth=2
	flat_store_byte v[18:19], v5 offset:3
	s_or_b64 exec, exec, s[46:47]
	v_cmp_lt_u32_e64 s[14:15], 4, v56
	s_and_saveexec_b64 s[46:47], s[14:15]
	s_cbranch_execz .LBB4_178
.LBB4_188:                              ;   in Loop: Header=BB4_157 Depth=2
	flat_store_byte v[18:19], v66 offset:4
	s_or_b64 exec, exec, s[46:47]
	v_cmp_lt_u32_e64 s[14:15], 5, v56
	s_and_saveexec_b64 s[46:47], s[14:15]
	s_cbranch_execz .LBB4_179
.LBB4_189:                              ;   in Loop: Header=BB4_157 Depth=2
	flat_store_byte v[18:19], v117 offset:5
	s_or_b64 exec, exec, s[46:47]
	v_cmp_lt_u32_e64 s[14:15], 6, v56
	s_and_saveexec_b64 s[46:47], s[14:15]
	s_cbranch_execz .LBB4_180
.LBB4_190:                              ;   in Loop: Header=BB4_157 Depth=2
	flat_store_byte v[18:19], v118 offset:6
	s_or_b64 exec, exec, s[46:47]
	s_and_saveexec_b64 s[14:15], vcc
	s_cbranch_execnz .LBB4_181
	s_branch .LBB4_182
.LBB4_191:                              ;   in Loop: Header=BB4_24 Depth=1
	s_or_b64 exec, exec, s[44:45]
	s_or_b64 exec, exec, s[16:17]
	s_and_saveexec_b64 s[14:15], s[6:7]
	s_cbranch_execz .LBB4_154
.LBB4_192:                              ;   in Loop: Header=BB4_24 Depth=1
	s_and_saveexec_b64 s[16:17], s[28:29]
	s_xor_b64 s[16:17], exec, s[16:17]
	s_cbranch_execz .LBB4_207
; %bb.193:                              ;   in Loop: Header=BB4_24 Depth=1
	s_and_saveexec_b64 s[44:45], s[8:9]
	s_cbranch_execz .LBB4_206
; %bb.194:                              ;   in Loop: Header=BB4_24 Depth=1
	s_mov_b64 s[56:57], exec
	v_mbcnt_lo_u32_b32 v2, s56, 0
	v_mbcnt_hi_u32_b32 v2, s57, v2
	v_cmp_eq_u32_e32 vcc, 0, v2
	buffer_wbl2 sc1
	s_waitcnt vmcnt(0) lgkmcnt(0)
	buffer_inv sc1
	s_and_saveexec_b64 s[46:47], vcc
	s_cbranch_execz .LBB4_196
; %bb.195:                              ;   in Loop: Header=BB4_24 Depth=1
	s_bcnt1_i32_b64 s24, s[56:57]
	v_mov_b32_e32 v66, s24
	ds_add_u64 v0, v[66:67]
	s_trap 2
.LBB4_196:                              ;   in Loop: Header=BB4_24 Depth=1
	s_or_b64 exec, exec, s[46:47]
	s_trap 2
	ds_read_b64 v[2:3], v0
	s_waitcnt lgkmcnt(0)
	v_lshl_add_u64 v[54:55], v[54:55], 0, v[80:81]
	v_cmp_lt_u64_e32 vcc, v[2:3], v[54:55]
	s_and_saveexec_b64 s[46:47], vcc
	s_cbranch_execz .LBB4_205
; %bb.197:                              ;   in Loop: Header=BB4_24 Depth=1
	s_mov_b32 s24, 0
	s_mov_b64 s[56:57], 0
                                        ; implicit-def: $sgpr58_sgpr59
                                        ; implicit-def: $sgpr60_sgpr61
	s_branch .LBB4_199
.LBB4_198:                              ;   in Loop: Header=BB4_199 Depth=2
	s_or_b64 exec, exec, s[72:73]
	s_and_b64 s[62:63], exec, s[74:75]
	s_or_b64 s[56:57], s[62:63], s[56:57]
	s_andn2_b64 s[58:59], s[58:59], exec
	s_and_b64 s[62:63], s[60:61], exec
	s_or_b64 s[58:59], s[58:59], s[62:63]
	s_andn2_b64 exec, exec, s[56:57]
	s_cbranch_execz .LBB4_203
.LBB4_199:                              ;   Parent Loop BB4_24 Depth=1
                                        ; =>  This Inner Loop Header: Depth=2
	s_add_i32 s24, s24, 1
	s_cmpk_lg_i32 s24, 0x2710
	s_cselect_b64 s[62:63], -1, 0
	s_and_b64 vcc, exec, s[62:63]
	s_cbranch_vccz .LBB4_201
; %bb.200:                              ;   in Loop: Header=BB4_199 Depth=2
	s_mov_b64 s[74:75], -1
	s_or_b64 s[60:61], s[60:61], exec
	s_and_saveexec_b64 s[72:73], s[62:63]
	s_cbranch_execz .LBB4_198
	s_branch .LBB4_202
.LBB4_201:                              ;   in Loop: Header=BB4_199 Depth=2
	s_trap 2
	ds_read_b64 v[2:3], v0
	s_andn2_b64 s[62:63], s[62:63], exec
	s_mov_b32 s24, 0
	s_waitcnt lgkmcnt(0)
	flat_load_dword v2, v[2:3] sc0 sc1
	s_waitcnt vmcnt(0) lgkmcnt(0)
	buffer_inv sc0 sc1
	v_cmp_eq_u32_e32 vcc, 0, v2
	s_and_b64 s[72:73], vcc, exec
	s_or_b64 s[62:63], s[62:63], s[72:73]
	s_mov_b64 s[74:75], -1
	s_or_b64 s[60:61], s[60:61], exec
	s_and_saveexec_b64 s[72:73], s[62:63]
	s_cbranch_execz .LBB4_198
.LBB4_202:                              ;   in Loop: Header=BB4_199 Depth=2
	s_sleep 1
	s_trap 2
	ds_read_b64 v[2:3], v0
	s_waitcnt lgkmcnt(0)
	s_andn2_b64 s[60:61], s[60:61], exec
	v_cmp_ge_u64_e32 vcc, v[2:3], v[54:55]
	s_orn2_b64 s[74:75], vcc, exec
	s_branch .LBB4_198
.LBB4_203:                              ;   in Loop: Header=BB4_24 Depth=1
	s_or_b64 exec, exec, s[56:57]
	s_and_saveexec_b64 s[56:57], s[58:59]
	s_xor_b64 s[56:57], exec, s[56:57]
	s_cbranch_execz .LBB4_205
; %bb.204:                              ;   in Loop: Header=BB4_24 Depth=1
	ds_write_b32 v0, v1
	s_trap 2
.LBB4_205:                              ;   in Loop: Header=BB4_24 Depth=1
	s_or_b64 exec, exec, s[46:47]
	;;#ASMSTART
	s_wakeup
	;;#ASMEND
.LBB4_206:                              ;   in Loop: Header=BB4_24 Depth=1
	s_or_b64 exec, exec, s[44:45]
.LBB4_207:                              ;   in Loop: Header=BB4_24 Depth=1
	s_andn2_saveexec_b64 s[16:17], s[16:17]
	s_cbranch_execz .LBB4_209
; %bb.208:                              ;   in Loop: Header=BB4_24 Depth=1
	buffer_wbl2 sc1
	s_waitcnt vmcnt(0) lgkmcnt(0)
	buffer_inv sc1
	s_barrier
.LBB4_209:                              ;   in Loop: Header=BB4_24 Depth=1
	s_or_b64 exec, exec, s[16:17]
	s_or_b64 exec, exec, s[14:15]
	s_and_saveexec_b64 s[14:15], s[10:11]
	s_cbranch_execz .LBB4_23
.LBB4_210:                              ;   in Loop: Header=BB4_24 Depth=1
	v_lshl_add_u64 v[38:39], v[38:39], 0, 1
	flat_store_dwordx2 v[48:49], v[38:39] sc0 sc1
	s_branch .LBB4_23
.LBB4_211:
	s_or_b64 exec, exec, s[26:27]
	s_or_b64 exec, exec, s[22:23]
	s_and_saveexec_b64 s[2:3], s[20:21]
	s_cbranch_execz .LBB4_20
.LBB4_212:
	s_waitcnt vmcnt(0) lgkmcnt(0)
	flat_store_dwordx2 v[28:29], v[38:39] offset:104
	s_or_b64 exec, exec, s[2:3]
	s_and_saveexec_b64 s[2:3], s[0:1]
	s_cbranch_execz .LBB4_21
.LBB4_213:
	s_waitcnt vmcnt(0) lgkmcnt(0)
	flat_store_dwordx2 v[26:27], v[14:15] offset:104
	s_or_b64 exec, exec, s[2:3]
	v_cmp_ne_u32_e32 vcc, 64, v20
	s_and_saveexec_b64 s[0:1], vcc
	s_cbranch_execz .LBB4_231
.LBB4_214:
	v_cmp_ne_u32_sdwa s[2:3], v20, v44 src0_sel:DWORD src1_sel:WORD_0
	s_and_saveexec_b64 s[4:5], s[2:3]
	s_xor_b64 s[2:3], exec, s[4:5]
	s_cbranch_execz .LBB4_229
; %bb.215:
	v_and_b32_e32 v0, 63, v31
	v_cmp_eq_u32_e32 vcc, 0, v0
	s_and_saveexec_b64 s[4:5], vcc
	s_cbranch_execz .LBB4_228
; %bb.216:
	s_mov_b64 s[8:9], exec
	v_mbcnt_lo_u32_b32 v0, s8, 0
	v_mbcnt_hi_u32_b32 v0, s9, v0
	v_cmp_eq_u32_e32 vcc, 0, v0
	buffer_wbl2 sc1
	s_waitcnt vmcnt(0) lgkmcnt(0)
	buffer_inv sc1
	s_and_saveexec_b64 s[6:7], vcc
	s_cbranch_execz .LBB4_218
; %bb.217:
	s_bcnt1_i32_b64 s8, s[8:9]
	v_mov_b32_e32 v0, s8
	v_mov_b32_e32 v1, 0
	ds_add_u64 v0, v[0:1]
	s_trap 2
.LBB4_218:
	s_or_b64 exec, exec, s[6:7]
	s_trap 2
	ds_read_b64 v[2:3], v0
	s_waitcnt lgkmcnt(0)
	v_lshrrev_b32_e32 v0, 6, v20
	v_mov_b32_e32 v1, 0
	v_lshl_add_u64 v[0:1], v[54:55], 0, v[0:1]
	v_cmp_lt_u64_e32 vcc, v[2:3], v[0:1]
	s_and_saveexec_b64 s[6:7], vcc
	s_cbranch_execz .LBB4_227
; %bb.219:
	s_mov_b32 s20, 0
	s_mov_b64 s[8:9], 0
                                        ; implicit-def: $sgpr10_sgpr11
                                        ; implicit-def: $sgpr12_sgpr13
	s_branch .LBB4_221
.LBB4_220:                              ;   in Loop: Header=BB4_221 Depth=1
	s_or_b64 exec, exec, s[16:17]
	s_and_b64 s[14:15], exec, s[18:19]
	s_or_b64 s[8:9], s[14:15], s[8:9]
	s_andn2_b64 s[10:11], s[10:11], exec
	s_and_b64 s[14:15], s[12:13], exec
	s_or_b64 s[10:11], s[10:11], s[14:15]
	s_andn2_b64 exec, exec, s[8:9]
	s_cbranch_execz .LBB4_225
.LBB4_221:                              ; =>This Inner Loop Header: Depth=1
	s_add_i32 s20, s20, 1
	s_cmpk_lg_i32 s20, 0x2710
	s_cselect_b64 s[14:15], -1, 0
	s_and_b64 vcc, exec, s[14:15]
	s_cbranch_vccz .LBB4_223
; %bb.222:                              ;   in Loop: Header=BB4_221 Depth=1
	s_mov_b64 s[18:19], -1
	s_or_b64 s[12:13], s[12:13], exec
	s_and_saveexec_b64 s[16:17], s[14:15]
	s_cbranch_execz .LBB4_220
	s_branch .LBB4_224
.LBB4_223:                              ;   in Loop: Header=BB4_221 Depth=1
	s_trap 2
	ds_read_b64 v[2:3], v0
	s_andn2_b64 s[14:15], s[14:15], exec
	s_mov_b32 s20, 0
	s_waitcnt lgkmcnt(0)
	flat_load_dword v2, v[2:3] sc0 sc1
	s_waitcnt vmcnt(0) lgkmcnt(0)
	buffer_inv sc0 sc1
	v_cmp_eq_u32_e32 vcc, 0, v2
	s_and_b64 s[16:17], vcc, exec
	s_or_b64 s[14:15], s[14:15], s[16:17]
	s_mov_b64 s[18:19], -1
	s_or_b64 s[12:13], s[12:13], exec
	s_and_saveexec_b64 s[16:17], s[14:15]
	s_cbranch_execz .LBB4_220
.LBB4_224:                              ;   in Loop: Header=BB4_221 Depth=1
	s_sleep 1
	s_trap 2
	ds_read_b64 v[2:3], v0
	s_waitcnt lgkmcnt(0)
	s_andn2_b64 s[12:13], s[12:13], exec
	v_cmp_ge_u64_e32 vcc, v[2:3], v[0:1]
	s_orn2_b64 s[18:19], vcc, exec
	s_branch .LBB4_220
.LBB4_225:
	s_or_b64 exec, exec, s[8:9]
	s_and_saveexec_b64 s[8:9], s[10:11]
	s_xor_b64 s[8:9], exec, s[8:9]
	s_cbranch_execz .LBB4_227
; %bb.226:
	v_mov_b32_e32 v0, 1
	ds_write_b32 v0, v0
	s_trap 2
.LBB4_227:
	s_or_b64 exec, exec, s[6:7]
	;;#ASMSTART
	s_wakeup
	;;#ASMEND
.LBB4_228:
	s_or_b64 exec, exec, s[4:5]
.LBB4_229:
	s_andn2_saveexec_b64 s[2:3], s[2:3]
	s_cbranch_execz .LBB4_231
; %bb.230:
	buffer_wbl2 sc1
	s_waitcnt vmcnt(0) lgkmcnt(0)
	buffer_inv sc1
	s_barrier
.LBB4_231:
	s_or_b64 exec, exec, s[0:1]
	scratch_load_dword v73, off, s32        ; 4-byte Folded Reload
	scratch_load_dword v72, off, s32 offset:4 ; 4-byte Folded Reload
	scratch_load_dword v63, off, s32 offset:8 ; 4-byte Folded Reload
	;; [unrolled: 1-line block ×17, first 2 shown]
	v_readlane_b32 s30, v74, 0
	v_readlane_b32 s31, v74, 1
	s_or_saveexec_b64 s[0:1], -1
	scratch_load_dword v74, off, s32 offset:72 ; 4-byte Folded Reload
	s_mov_b64 exec, s[0:1]
	s_waitcnt vmcnt(0) lgkmcnt(0)
	s_setpc_b64 s[30:31]
.Lfunc_end4:
	.size	_ZN12_GLOBAL__N_17runRingIh14FuncSumPostDivIhE7ProtoLLLi0ELi4ELi0EEEviiP15ncclDevWorkColl, .Lfunc_end4-_ZN12_GLOBAL__N_17runRingIh14FuncSumPostDivIhE7ProtoLLLi0ELi4ELi0EEEviiP15ncclDevWorkColl
                                        ; -- End function
	.set .L_ZN12_GLOBAL__N_17runRingIh14FuncSumPostDivIhE7ProtoLLLi0ELi4ELi0EEEviiP15ncclDevWorkColl.num_vgpr, 120
	.set .L_ZN12_GLOBAL__N_17runRingIh14FuncSumPostDivIhE7ProtoLLLi0ELi4ELi0EEEviiP15ncclDevWorkColl.num_agpr, 0
	.set .L_ZN12_GLOBAL__N_17runRingIh14FuncSumPostDivIhE7ProtoLLLi0ELi4ELi0EEEviiP15ncclDevWorkColl.numbered_sgpr, 96
	.set .L_ZN12_GLOBAL__N_17runRingIh14FuncSumPostDivIhE7ProtoLLLi0ELi4ELi0EEEviiP15ncclDevWorkColl.num_named_barrier, 0
	.set .L_ZN12_GLOBAL__N_17runRingIh14FuncSumPostDivIhE7ProtoLLLi0ELi4ELi0EEEviiP15ncclDevWorkColl.private_seg_size, 80
	.set .L_ZN12_GLOBAL__N_17runRingIh14FuncSumPostDivIhE7ProtoLLLi0ELi4ELi0EEEviiP15ncclDevWorkColl.uses_vcc, 1
	.set .L_ZN12_GLOBAL__N_17runRingIh14FuncSumPostDivIhE7ProtoLLLi0ELi4ELi0EEEviiP15ncclDevWorkColl.uses_flat_scratch, 0
	.set .L_ZN12_GLOBAL__N_17runRingIh14FuncSumPostDivIhE7ProtoLLLi0ELi4ELi0EEEviiP15ncclDevWorkColl.has_dyn_sized_stack, 0
	.set .L_ZN12_GLOBAL__N_17runRingIh14FuncSumPostDivIhE7ProtoLLLi0ELi4ELi0EEEviiP15ncclDevWorkColl.has_recursion, 0
	.set .L_ZN12_GLOBAL__N_17runRingIh14FuncSumPostDivIhE7ProtoLLLi0ELi4ELi0EEEviiP15ncclDevWorkColl.has_indirect_call, 0
	.section	.AMDGPU.csdata,"",@progbits
; Function info:
; codeLenInByte = 8052
; TotalNumSgprs: 102
; NumVgprs: 120
; NumAgprs: 0
; TotalNumVgprs: 120
; ScratchSize: 80
; MemoryBound: 0
	.text
	.p2align	2                               ; -- Begin function _Z53ncclDevFunc_ReduceScatter_RING_LL_SumPostDiv_u8_0_0_4v
	.type	_Z53ncclDevFunc_ReduceScatter_RING_LL_SumPostDiv_u8_0_0_4v,@function
_Z53ncclDevFunc_ReduceScatter_RING_LL_SumPostDiv_u8_0_0_4v: ; @_Z53ncclDevFunc_ReduceScatter_RING_LL_SumPostDiv_u8_0_0_4v
; %bb.0:
	s_waitcnt vmcnt(0) expcnt(0) lgkmcnt(0)
	s_mov_b32 s0, s33
	s_mov_b32 s33, s32
	s_or_saveexec_b64 s[2:3], -1
	scratch_store_dword off, v42, s33 offset:12 ; 4-byte Folded Spill
	s_mov_b64 exec, s[2:3]
	v_writelane_b32 v42, s0, 8
	s_add_i32 s32, s32, 32
	scratch_store_dword off, v40, s33 offset:8 ; 4-byte Folded Spill
	scratch_store_dword off, v41, s33 offset:4 ; 4-byte Folded Spill
	scratch_store_dword off, v74, s33       ; 4-byte Folded Spill
	v_writelane_b32 v42, s34, 0
	v_writelane_b32 v42, s35, 1
	;; [unrolled: 1-line block ×7, first 2 shown]
	s_nop 1
	v_writelane_b32 v42, s31, 7
	s_trap 2
	ds_read_b32 v0, v0
	v_and_b32_e32 v40, 0x3ff, v31
	s_mov_b32 s36, s12
	s_mov_b64 s[34:35], s[8:9]
	s_waitcnt lgkmcnt(0)
	v_cmp_lt_i32_e32 vcc, v40, v0
	s_and_saveexec_b64 s[0:1], vcc
	s_cbranch_execz .LBB5_5
; %bb.1:
	s_load_dword s2, s[34:35], 0x0
	v_mov_b32_e32 v1, 0
	v_mov_b32_e32 v4, v40
                                        ; implicit-def: $vgpr2
	s_waitcnt lgkmcnt(0)
	s_cmp_lt_u32 s36, s2
	s_cselect_b32 s2, 12, 18
	s_add_u32 s2, s34, s2
	s_addc_u32 s3, s35, 0
	global_load_ushort v1, v1, s[2:3]
	s_trap 2
	ds_read_b32 v3, v0
	s_mov_b64 s[2:3], 0
	s_waitcnt vmcnt(0) lgkmcnt(0)
	v_mul_lo_u32 v3, v3, v1
	s_branch .LBB5_3
.LBB5_2:                                ;   in Loop: Header=BB5_3 Depth=1
	s_or_b64 exec, exec, s[4:5]
	v_add_u32_e32 v4, v4, v1
	v_cmp_ge_i32_e32 vcc, v4, v0
	s_or_b64 s[2:3], vcc, s[2:3]
	v_add_u32_e32 v2, v2, v3
	s_andn2_b64 exec, exec, s[2:3]
	s_cbranch_execz .LBB5_5
.LBB5_3:                                ; =>This Inner Loop Header: Depth=1
	ds_read_b32 v5, v2
	s_waitcnt lgkmcnt(0)
	v_and_b32_e32 v5, 0x1000000, v5
	v_cmp_ne_u32_e32 vcc, 0, v5
	s_and_saveexec_b64 s[4:5], vcc
	s_cbranch_execz .LBB5_2
; %bb.4:                                ;   in Loop: Header=BB5_3 Depth=1
	ds_read_b64 v[6:7], v2 offset:104
	s_waitcnt lgkmcnt(0)
	flat_load_dwordx2 v[6:7], v[6:7]
	s_waitcnt vmcnt(0) lgkmcnt(0)
	ds_write_b64 v2, v[6:7] offset:104
	s_branch .LBB5_2
.LBB5_5:
	s_or_b64 exec, exec, s[0:1]
	s_waitcnt lgkmcnt(0)
	s_barrier
	s_trap 2
	ds_read_b32 v0, v0
	s_waitcnt lgkmcnt(0)
	v_cmp_gt_i32_e32 vcc, 1, v0
	s_cbranch_vccnz .LBB5_13
; %bb.6:
	s_mov_b32 s37, 0
	v_mov_b32_e32 v41, 6
	s_branch .LBB5_8
.LBB5_7:                                ;   in Loop: Header=BB5_8 Depth=1
	s_or_b64 exec, exec, s[38:39]
	s_trap 2
	ds_read_b32 v0, v0
	s_add_i32 s37, s37, 1
	s_waitcnt lgkmcnt(0)
	v_cmp_lt_i32_e32 vcc, s37, v0
	s_cbranch_vccz .LBB5_13
.LBB5_8:                                ; =>This Inner Loop Header: Depth=1
	s_trap 2
	ds_read_b32 v0, v0
	s_cmp_eq_u32 s37, 0
	s_cbranch_scc1 .LBB5_11
; %bb.9:                                ;   in Loop: Header=BB5_8 Depth=1
	s_trap 2
	s_waitcnt lgkmcnt(0)
	ds_read_b32 v1, v0
	s_waitcnt lgkmcnt(0)
	v_xor_b32_e32 v1, v1, v0
	v_and_b32_e32 v1, 0xff0000, v1
	v_cmp_eq_u32_e32 vcc, 0, v1
	s_cbranch_vccnz .LBB5_11
; %bb.10:                               ;   in Loop: Header=BB5_8 Depth=1
	s_barrier
	ds_read_b32 v0, v0
.LBB5_11:                               ;   in Loop: Header=BB5_8 Depth=1
	s_waitcnt lgkmcnt(0)
	v_lshlrev_b32_sdwa v1, v41, v0 dst_sel:DWORD dst_unused:UNUSED_PAD src0_sel:DWORD src1_sel:BYTE_2
	v_cmp_lt_u32_e32 vcc, v40, v1
	s_and_saveexec_b64 s[38:39], vcc
	s_cbranch_execz .LBB5_7
; %bb.12:                               ;   in Loop: Header=BB5_8 Depth=1
	s_mov_b64 s[0:1], src_shared_base
	s_getpc_b64 s[2:3]
	s_add_u32 s2, s2, _ZN12_GLOBAL__N_17runRingIh14FuncSumPostDivIhE7ProtoLLLi0ELi4ELi0EEEviiP15ncclDevWorkColl@rel32@lo+4
	s_addc_u32 s3, s3, _ZN12_GLOBAL__N_17runRingIh14FuncSumPostDivIhE7ProtoLLLi0ELi4ELi0EEEviiP15ncclDevWorkColl@rel32@hi+12
	s_mov_b64 s[8:9], s[34:35]
	s_mov_b32 s12, s36
	v_mov_b32_e32 v0, v40
	v_mov_b32_e32 v3, s1
	s_swappc_b64 s[30:31], s[2:3]
	s_branch .LBB5_7
.LBB5_13:
	scratch_load_dword v74, off, s33        ; 4-byte Folded Reload
	scratch_load_dword v41, off, s33 offset:4 ; 4-byte Folded Reload
	scratch_load_dword v40, off, s33 offset:8 ; 4-byte Folded Reload
	v_readlane_b32 s30, v42, 6
	v_readlane_b32 s31, v42, 7
	;; [unrolled: 1-line block ×8, first 2 shown]
	s_mov_b32 s32, s33
	v_readlane_b32 s0, v42, 8
	s_or_saveexec_b64 s[2:3], -1
	scratch_load_dword v42, off, s33 offset:12 ; 4-byte Folded Reload
	s_mov_b64 exec, s[2:3]
	s_mov_b32 s33, s0
	s_waitcnt vmcnt(0)
	s_setpc_b64 s[30:31]
.Lfunc_end5:
	.size	_Z53ncclDevFunc_ReduceScatter_RING_LL_SumPostDiv_u8_0_0_4v, .Lfunc_end5-_Z53ncclDevFunc_ReduceScatter_RING_LL_SumPostDiv_u8_0_0_4v
                                        ; -- End function
	.set .L_Z53ncclDevFunc_ReduceScatter_RING_LL_SumPostDiv_u8_0_0_4v.num_vgpr, max(75, .L_ZN12_GLOBAL__N_17runRingIh14FuncSumPostDivIhE7ProtoLLLi0ELi4ELi0EEEviiP15ncclDevWorkColl.num_vgpr)
	.set .L_Z53ncclDevFunc_ReduceScatter_RING_LL_SumPostDiv_u8_0_0_4v.num_agpr, max(0, .L_ZN12_GLOBAL__N_17runRingIh14FuncSumPostDivIhE7ProtoLLLi0ELi4ELi0EEEviiP15ncclDevWorkColl.num_agpr)
	.set .L_Z53ncclDevFunc_ReduceScatter_RING_LL_SumPostDiv_u8_0_0_4v.numbered_sgpr, max(40, .L_ZN12_GLOBAL__N_17runRingIh14FuncSumPostDivIhE7ProtoLLLi0ELi4ELi0EEEviiP15ncclDevWorkColl.numbered_sgpr)
	.set .L_Z53ncclDevFunc_ReduceScatter_RING_LL_SumPostDiv_u8_0_0_4v.num_named_barrier, max(0, .L_ZN12_GLOBAL__N_17runRingIh14FuncSumPostDivIhE7ProtoLLLi0ELi4ELi0EEEviiP15ncclDevWorkColl.num_named_barrier)
	.set .L_Z53ncclDevFunc_ReduceScatter_RING_LL_SumPostDiv_u8_0_0_4v.private_seg_size, 32+max(.L_ZN12_GLOBAL__N_17runRingIh14FuncSumPostDivIhE7ProtoLLLi0ELi4ELi0EEEviiP15ncclDevWorkColl.private_seg_size)
	.set .L_Z53ncclDevFunc_ReduceScatter_RING_LL_SumPostDiv_u8_0_0_4v.uses_vcc, or(1, .L_ZN12_GLOBAL__N_17runRingIh14FuncSumPostDivIhE7ProtoLLLi0ELi4ELi0EEEviiP15ncclDevWorkColl.uses_vcc)
	.set .L_Z53ncclDevFunc_ReduceScatter_RING_LL_SumPostDiv_u8_0_0_4v.uses_flat_scratch, or(0, .L_ZN12_GLOBAL__N_17runRingIh14FuncSumPostDivIhE7ProtoLLLi0ELi4ELi0EEEviiP15ncclDevWorkColl.uses_flat_scratch)
	.set .L_Z53ncclDevFunc_ReduceScatter_RING_LL_SumPostDiv_u8_0_0_4v.has_dyn_sized_stack, or(0, .L_ZN12_GLOBAL__N_17runRingIh14FuncSumPostDivIhE7ProtoLLLi0ELi4ELi0EEEviiP15ncclDevWorkColl.has_dyn_sized_stack)
	.set .L_Z53ncclDevFunc_ReduceScatter_RING_LL_SumPostDiv_u8_0_0_4v.has_recursion, or(1, .L_ZN12_GLOBAL__N_17runRingIh14FuncSumPostDivIhE7ProtoLLLi0ELi4ELi0EEEviiP15ncclDevWorkColl.has_recursion)
	.set .L_Z53ncclDevFunc_ReduceScatter_RING_LL_SumPostDiv_u8_0_0_4v.has_indirect_call, or(0, .L_ZN12_GLOBAL__N_17runRingIh14FuncSumPostDivIhE7ProtoLLLi0ELi4ELi0EEEviiP15ncclDevWorkColl.has_indirect_call)
	.section	.AMDGPU.csdata,"",@progbits
; Function info:
; codeLenInByte = 700
; TotalNumSgprs: 102
; NumVgprs: 120
; NumAgprs: 0
; TotalNumVgprs: 120
; ScratchSize: 112
; MemoryBound: 0
	.text
	.p2alignl 6, 3212836864
	.fill 256, 4, 3212836864
	.section	.AMDGPU.gpr_maximums,"",@progbits
	.set amdgpu.max_num_vgpr, 120
	.set amdgpu.max_num_agpr, 0
	.set amdgpu.max_num_sgpr, 96
	.text
	.type	__hip_cuid_dc518c206d38e948,@object ; @__hip_cuid_dc518c206d38e948
	.section	.bss,"aw",@nobits
	.globl	__hip_cuid_dc518c206d38e948
__hip_cuid_dc518c206d38e948:
	.byte	0                               ; 0x0
	.size	__hip_cuid_dc518c206d38e948, 1

	.ident	"AMD clang version 22.0.0git (https://github.com/RadeonOpenCompute/llvm-project roc-7.2.4 26084 f58b06dce1f9c15707c5f808fd002e18c2accf7e)"
	.section	".note.GNU-stack","",@progbits
	.addrsig
	.addrsig_sym _Z53ncclDevFunc_ReduceScatter_RING_LL_SumPostDiv_u8_0_0_1v
	.addrsig_sym _Z53ncclDevFunc_ReduceScatter_RING_LL_SumPostDiv_u8_0_0_2v
	.addrsig_sym _Z53ncclDevFunc_ReduceScatter_RING_LL_SumPostDiv_u8_0_0_4v
	.addrsig_sym ncclShmem
	.addrsig_sym __hip_cuid_dc518c206d38e948
	.amdgpu_metadata
---
amdhsa.kernels:  []
amdhsa.target:   amdgcn-amd-amdhsa--gfx950
amdhsa.version:
  - 1
  - 2
...

	.end_amdgpu_metadata
